;; amdgpu-corpus repo=ROCm/rocFFT kind=compiled arch=gfx906 opt=O3
	.text
	.amdgcn_target "amdgcn-amd-amdhsa--gfx906"
	.amdhsa_code_object_version 6
	.protected	bluestein_single_fwd_len1300_dim1_sp_op_CI_CI ; -- Begin function bluestein_single_fwd_len1300_dim1_sp_op_CI_CI
	.globl	bluestein_single_fwd_len1300_dim1_sp_op_CI_CI
	.p2align	8
	.type	bluestein_single_fwd_len1300_dim1_sp_op_CI_CI,@function
bluestein_single_fwd_len1300_dim1_sp_op_CI_CI: ; @bluestein_single_fwd_len1300_dim1_sp_op_CI_CI
; %bb.0:
	s_load_dwordx4 s[8:11], s[4:5], 0x28
	v_mul_u32_u24_e32 v1, 0x1f9, v0
	v_add_u32_sdwa v68, s6, v1 dst_sel:DWORD dst_unused:UNUSED_PAD src0_sel:DWORD src1_sel:WORD_1
	v_mov_b32_e32 v69, 0
	s_waitcnt lgkmcnt(0)
	v_cmp_gt_u64_e32 vcc, s[8:9], v[68:69]
	s_and_saveexec_b64 s[0:1], vcc
	s_cbranch_execz .LBB0_10
; %bb.1:
	s_load_dwordx4 s[0:3], s[4:5], 0x18
	s_load_dwordx4 s[12:15], s[4:5], 0x0
	s_movk_i32 s8, 0x1000
	s_load_dwordx2 s[4:5], s[4:5], 0x38
                                        ; implicit-def: $vgpr87
	s_waitcnt lgkmcnt(0)
	s_load_dwordx4 s[16:19], s[0:1], 0x0
	s_movk_i32 s0, 0x82
	v_mul_lo_u16_sdwa v1, v1, s0 dst_sel:DWORD dst_unused:UNUSED_PAD src0_sel:WORD_1 src1_sel:DWORD
	v_sub_u16_e32 v90, v0, v1
	v_lshlrev_b32_e32 v89, 3, v90
	s_waitcnt lgkmcnt(0)
	v_mad_u64_u32 v[0:1], s[0:1], s18, v68, 0
	v_mad_u64_u32 v[2:3], s[0:1], s16, v90, 0
	s_mul_i32 s7, s16, 0x410
	v_add_u32_e32 v27, 0x2000, v89
	v_mad_u64_u32 v[4:5], s[0:1], s19, v68, v[1:2]
	v_mul_lo_u16_e32 v48, 10, v90
	v_lshlrev_b32_e32 v92, 3, v48
	v_mad_u64_u32 v[5:6], s[0:1], s17, v90, v[3:4]
	v_mov_b32_e32 v1, v4
	v_lshlrev_b64 v[0:1], 3, v[0:1]
	v_mov_b32_e32 v6, s11
	v_mov_b32_e32 v3, v5
	v_add_co_u32_e32 v4, vcc, s10, v0
	v_addc_co_u32_e32 v5, vcc, v6, v1, vcc
	v_lshlrev_b64 v[0:1], 3, v[2:3]
	s_mul_i32 s0, s17, 0x410
	v_add_co_u32_e32 v0, vcc, v4, v0
	s_mul_hi_u32 s1, s16, 0x410
	v_addc_co_u32_e32 v1, vcc, v5, v1, vcc
	s_add_i32 s6, s1, s0
	global_load_dwordx2 v[2:3], v[0:1], off
	v_mov_b32_e32 v4, s6
	v_add_co_u32_e32 v0, vcc, s7, v0
	v_addc_co_u32_e32 v1, vcc, v1, v4, vcc
	v_mov_b32_e32 v4, s13
	v_add_co_u32_e32 v91, vcc, s12, v89
	v_addc_co_u32_e64 v17, s[0:1], 0, v4, vcc
	v_add_co_u32_e64 v4, s[0:1], s8, v91
	v_addc_co_u32_e64 v5, s[0:1], 0, v17, s[0:1]
	global_load_dwordx2 v[83:84], v89, s[12:13]
	global_load_dwordx2 v[81:82], v89, s[12:13] offset:1040
	global_load_dwordx2 v[79:80], v89, s[12:13] offset:2080
	;; [unrolled: 1-line block ×3, first 2 shown]
	global_load_dwordx2 v[75:76], v[4:5], off offset:64
	global_load_dwordx2 v[71:72], v[4:5], off offset:1104
	;; [unrolled: 1-line block ×4, first 2 shown]
	v_mov_b32_e32 v5, s6
	v_add_co_u32_e64 v4, s[0:1], s7, v0
	v_addc_co_u32_e64 v5, s[0:1], v1, v5, s[0:1]
	v_mov_b32_e32 v7, s6
	v_add_co_u32_e64 v6, s[0:1], s7, v4
	v_addc_co_u32_e64 v7, s[0:1], v5, v7, s[0:1]
	v_mov_b32_e32 v14, s6
	global_load_dwordx2 v[8:9], v[0:1], off
	global_load_dwordx2 v[10:11], v[4:5], off
	;; [unrolled: 1-line block ×3, first 2 shown]
	v_add_co_u32_e64 v0, s[0:1], s7, v6
	v_addc_co_u32_e64 v1, s[0:1], v7, v14, s[0:1]
	v_mov_b32_e32 v15, s6
	global_load_dwordx2 v[4:5], v[0:1], off
	v_add_co_u32_e64 v0, s[0:1], s7, v0
	v_addc_co_u32_e64 v1, s[0:1], v1, v15, s[0:1]
	v_mov_b32_e32 v16, s6
	global_load_dwordx2 v[6:7], v[0:1], off
	;; [unrolled: 4-line block ×4, first 2 shown]
	v_add_co_u32_e64 v0, s[0:1], s7, v0
	v_addc_co_u32_e64 v1, s[0:1], v1, v20, s[0:1]
	s_movk_i32 s0, 0x2000
	v_add_co_u32_e64 v16, s[0:1], s0, v91
	v_addc_co_u32_e64 v17, s[0:1], 0, v17, s[0:1]
	global_load_dwordx2 v[20:21], v[0:1], off
	v_mov_b32_e32 v22, s6
	v_add_co_u32_e64 v0, s[0:1], s7, v0
	v_addc_co_u32_e64 v1, s[0:1], v1, v22, s[0:1]
	global_load_dwordx2 v[73:74], v[16:17], off offset:128
	global_load_dwordx2 v[22:23], v[0:1], off
	global_load_dwordx2 v[69:70], v[16:17], off offset:1168
	v_add_u32_e32 v16, 0x800, v89
	v_add_u32_e32 v17, 0x1000, v89
	s_load_dwordx4 s[8:11], s[2:3], 0x0
	s_mov_b32 s1, 0x3f737871
	s_mov_b32 s0, 0xbf737871
	;; [unrolled: 1-line block ×4, first 2 shown]
	s_movk_i32 s6, 0xcd
	s_waitcnt vmcnt(18)
	v_mul_f32_e32 v0, v3, v84
	v_mul_f32_e32 v1, v2, v84
	v_fmac_f32_e32 v0, v2, v83
	v_fma_f32 v1, v3, v83, -v1
	s_waitcnt vmcnt(10)
	v_mul_f32_e32 v2, v9, v82
	v_mul_f32_e32 v3, v8, v82
	v_fmac_f32_e32 v2, v8, v81
	v_fma_f32 v3, v9, v81, -v3
	ds_write2_b64 v89, v[0:1], v[2:3] offset1:130
	s_waitcnt vmcnt(9)
	v_mul_f32_e32 v0, v11, v80
	v_mul_f32_e32 v1, v10, v80
	s_waitcnt vmcnt(8)
	v_mul_f32_e32 v2, v13, v78
	v_mul_f32_e32 v3, v12, v78
	v_fmac_f32_e32 v0, v10, v79
	v_fma_f32 v1, v11, v79, -v1
	v_fmac_f32_e32 v2, v12, v77
	v_fma_f32 v3, v13, v77, -v3
	ds_write2_b64 v16, v[0:1], v[2:3] offset0:4 offset1:134
	s_waitcnt vmcnt(7)
	v_mul_f32_e32 v0, v5, v76
	v_mul_f32_e32 v1, v4, v76
	s_waitcnt vmcnt(6)
	v_mul_f32_e32 v2, v7, v72
	v_mul_f32_e32 v3, v6, v72
	v_fmac_f32_e32 v0, v4, v75
	v_fma_f32 v1, v5, v75, -v1
	v_fmac_f32_e32 v2, v6, v71
	v_fma_f32 v3, v7, v71, -v3
	ds_write2_b64 v17, v[0:1], v[2:3] offset0:8 offset1:138
	s_waitcnt vmcnt(5)
	v_mul_f32_e32 v0, v15, v67
	v_mul_f32_e32 v1, v14, v67
	v_fmac_f32_e32 v0, v14, v66
	s_waitcnt vmcnt(4)
	v_mul_f32_e32 v2, v19, v65
	v_mul_f32_e32 v3, v18, v65
	v_fma_f32 v1, v15, v66, -v1
	v_fmac_f32_e32 v2, v18, v64
	v_fma_f32 v3, v19, v64, -v3
	v_add_u32_e32 v18, 0x1800, v89
	ds_write2_b64 v18, v[0:1], v[2:3] offset0:12 offset1:142
	s_waitcnt vmcnt(2)
	v_mul_f32_e32 v0, v21, v74
	v_mul_f32_e32 v1, v20, v74
	s_waitcnt vmcnt(0)
	v_mul_f32_e32 v2, v23, v70
	v_mul_f32_e32 v3, v22, v70
	v_fmac_f32_e32 v0, v20, v73
	v_fma_f32 v1, v21, v73, -v1
	v_fmac_f32_e32 v2, v22, v69
	v_fma_f32 v3, v23, v69, -v3
	ds_write2_b64 v27, v[0:1], v[2:3] offset0:16 offset1:146
	s_waitcnt lgkmcnt(0)
	s_barrier
	ds_read2_b64 v[0:3], v89 offset1:130
	ds_read2_b64 v[4:7], v16 offset0:4 offset1:134
	ds_read2_b64 v[8:11], v17 offset0:8 offset1:138
	s_waitcnt lgkmcnt(1)
	v_add_f32_e32 v12, v0, v4
	v_add_f32_e32 v19, v2, v6
	s_waitcnt lgkmcnt(0)
	v_add_f32_e32 v23, v12, v8
	v_add_f32_e32 v12, v1, v5
	;; [unrolled: 1-line block ×5, first 2 shown]
	ds_read2_b64 v[12:15], v18 offset0:12 offset1:142
	v_add_f32_e32 v26, v19, v11
	ds_read2_b64 v[19:22], v27 offset0:16 offset1:146
	v_sub_f32_e32 v30, v4, v8
	v_sub_f32_e32 v31, v8, v4
	s_waitcnt lgkmcnt(1)
	v_add_f32_e32 v28, v8, v12
	v_sub_f32_e32 v29, v9, v13
	v_add_f32_e32 v32, v9, v13
	v_sub_f32_e32 v33, v8, v12
	v_sub_f32_e32 v8, v5, v9
	v_sub_f32_e32 v9, v9, v5
	v_add_f32_e32 v34, v10, v14
	v_sub_f32_e32 v35, v11, v15
	v_sub_f32_e32 v36, v6, v10
	v_sub_f32_e32 v37, v10, v6
	v_add_f32_e32 v38, v11, v15
	v_sub_f32_e32 v39, v7, v11
	v_sub_f32_e32 v11, v11, v7
	s_waitcnt lgkmcnt(0)
	v_sub_f32_e32 v40, v5, v20
	v_add_f32_e32 v43, v5, v20
	v_sub_f32_e32 v44, v7, v22
	v_add_f32_e32 v45, v6, v21
	;; [unrolled: 2-line block ×3, first 2 shown]
	v_add_f32_e32 v5, v24, v13
	v_add_f32_e32 v6, v25, v14
	;; [unrolled: 1-line block ×3, first 2 shown]
	v_sub_f32_e32 v24, v20, v13
	v_sub_f32_e32 v25, v21, v14
	;; [unrolled: 1-line block ×3, first 2 shown]
	v_add_f32_e32 v41, v4, v19
	v_sub_f32_e32 v42, v4, v19
	v_add_f32_e32 v4, v23, v12
	v_sub_f32_e32 v23, v19, v12
	v_add_f32_e32 v24, v8, v24
	v_add_f32_e32 v8, v36, v25
	;; [unrolled: 1-line block ×3, first 2 shown]
	v_fma_f32 v26, -0.5, v34, v2
	v_sub_f32_e32 v12, v12, v19
	v_add_f32_e32 v19, v4, v19
	v_add_f32_e32 v23, v30, v23
	v_mov_b32_e32 v4, v26
	v_fma_f32 v30, -0.5, v38, v3
	v_sub_f32_e32 v13, v13, v20
	v_add_f32_e32 v20, v5, v20
	v_fmac_f32_e32 v4, 0x3f737871, v44
	v_mov_b32_e32 v5, v30
	v_fma_f32 v28, -0.5, v28, v0
	v_fma_f32 v32, -0.5, v32, v1
	v_sub_f32_e32 v10, v10, v14
	v_fmac_f32_e32 v4, 0x3f167918, v35
	v_fmac_f32_e32 v5, 0xbf737871, v46
	v_mov_b32_e32 v38, v28
	v_mov_b32_e32 v39, v32
	v_fmac_f32_e32 v4, 0x3e9e377a, v8
	v_fmac_f32_e32 v5, 0xbf167918, v10
	;; [unrolled: 1-line block ×5, first 2 shown]
	v_mul_f32_e32 v34, 0x3f4f1bbd, v4
	v_mul_f32_e32 v36, 0xbf167918, v4
	v_fmac_f32_e32 v38, 0x3f167918, v29
	v_fmac_f32_e32 v39, 0xbf167918, v33
	v_sub_f32_e32 v14, v14, v21
	v_sub_f32_e32 v15, v15, v22
	v_add_f32_e32 v21, v6, v21
	v_add_f32_e32 v22, v7, v22
	v_fmac_f32_e32 v34, 0x3f167918, v5
	v_fmac_f32_e32 v36, 0x3f4f1bbd, v5
	;; [unrolled: 1-line block ×4, first 2 shown]
	v_add_f32_e32 v4, v19, v21
	v_add_f32_e32 v6, v38, v34
	;; [unrolled: 1-line block ×4, first 2 shown]
	s_barrier
	ds_write_b128 v92, v[4:7]
	v_fma_f32 v7, -0.5, v41, v0
	v_fma_f32 v0, -0.5, v45, v2
	v_fmac_f32_e32 v3, -0.5, v47
	v_add_f32_e32 v5, v11, v15
	v_fma_f32 v11, -0.5, v43, v1
	v_mov_b32_e32 v1, v0
	v_fmac_f32_e32 v0, 0x3f737871, v35
	v_add_f32_e32 v4, v37, v14
	v_fmac_f32_e32 v0, 0xbf167918, v44
	v_mov_b32_e32 v2, v3
	v_fmac_f32_e32 v3, 0xbf737871, v10
	v_fmac_f32_e32 v0, 0x3e9e377a, v4
	;; [unrolled: 1-line block ×4, first 2 shown]
	v_mul_f32_e32 v6, 0x3e9e377a, v0
	v_fma_f32 v14, v3, s1, -v6
	v_add_f32_e32 v6, v31, v12
	v_mov_b32_e32 v12, v7
	v_fmac_f32_e32 v12, 0xbf737871, v29
	v_fmac_f32_e32 v7, 0x3f737871, v29
	;; [unrolled: 1-line block ×8, first 2 shown]
	v_add_f32_e32 v6, v9, v13
	v_mov_b32_e32 v9, v11
	v_fmac_f32_e32 v1, 0x3f167918, v44
	v_fmac_f32_e32 v2, 0xbf167918, v46
	v_fmac_f32_e32 v9, 0x3f737871, v33
	v_fmac_f32_e32 v11, 0xbf737871, v33
	v_fmac_f32_e32 v1, 0x3e9e377a, v4
	v_fmac_f32_e32 v2, 0x3e9e377a, v5
	v_mul_f32_e32 v3, 0x3e9e377a, v3
	v_fmac_f32_e32 v9, 0xbf167918, v42
	v_fmac_f32_e32 v11, 0x3f167918, v42
	v_mul_f32_e32 v4, 0x3f737871, v2
	v_mul_f32_e32 v5, 0xbf737871, v1
	v_fmac_f32_e32 v26, 0xbf737871, v44
	v_fmac_f32_e32 v30, 0x3f737871, v46
	;; [unrolled: 1-line block ×6, first 2 shown]
	v_fma_f32 v13, v0, s0, -v3
	v_fmac_f32_e32 v26, 0xbf167918, v35
	v_fmac_f32_e32 v30, 0x3f167918, v10
	v_add_f32_e32 v0, v12, v4
	v_add_f32_e32 v2, v7, v14
	;; [unrolled: 1-line block ×4, first 2 shown]
	v_fmac_f32_e32 v28, 0xbf737871, v40
	v_fmac_f32_e32 v26, 0x3e9e377a, v8
	;; [unrolled: 1-line block ×4, first 2 shown]
	ds_write_b128 v92, v[0:3] offset:16
	v_fmac_f32_e32 v28, 0xbf167918, v29
	v_mul_f32_e32 v1, 0x3f4f1bbd, v26
	v_sub_f32_e32 v3, v9, v5
	v_fmac_f32_e32 v32, 0x3f167918, v33
	v_mul_f32_e32 v5, 0x3f4f1bbd, v30
	v_fmac_f32_e32 v28, 0x3e9e377a, v23
	v_fma_f32 v1, v30, s3, -v1
	v_sub_f32_e32 v9, v11, v13
	v_fmac_f32_e32 v32, 0x3e9e377a, v24
	v_fma_f32 v11, v26, s2, -v5
	v_sub_f32_e32 v0, v38, v34
	v_sub_f32_e32 v2, v12, v4
	;; [unrolled: 1-line block ×3, first 2 shown]
	v_add_f32_e32 v4, v28, v1
	v_sub_f32_e32 v8, v7, v14
	v_sub_f32_e32 v7, v20, v22
	v_add_f32_e32 v5, v32, v11
	v_sub_f32_e32 v10, v28, v1
	v_sub_f32_e32 v1, v39, v36
	;; [unrolled: 1-line block ×3, first 2 shown]
	ds_write_b128 v92, v[4:7] offset:32
	ds_write_b128 v92, v[0:3] offset:48
	;; [unrolled: 1-line block ×3, first 2 shown]
	v_mul_lo_u16_sdwa v0, v90, s6 dst_sel:DWORD dst_unused:UNUSED_PAD src0_sel:BYTE_0 src1_sel:DWORD
	v_lshrrev_b16_e32 v28, 11, v0
	v_mul_lo_u16_e32 v0, 10, v28
	v_sub_u16_e32 v0, v90, v0
	v_and_b32_e32 v29, 0xff, v0
	v_mov_b32_e32 v0, s14
	s_movk_i32 s6, 0x48
	v_mov_b32_e32 v1, s15
	v_mad_u64_u32 v[19:20], s[6:7], v29, s6, v[0:1]
	s_waitcnt lgkmcnt(0)
	s_barrier
	global_load_dwordx4 v[0:3], v[19:20], off
	global_load_dwordx4 v[4:7], v[19:20], off offset:16
	global_load_dwordx4 v[8:11], v[19:20], off offset:32
	;; [unrolled: 1-line block ×3, first 2 shown]
	global_load_dwordx2 v[85:86], v[19:20], off offset:64
	ds_read2_b64 v[19:22], v16 offset0:4 offset1:134
	s_waitcnt vmcnt(4) lgkmcnt(0)
	v_mul_f32_e32 v23, v20, v3
	v_fma_f32 v30, v19, v2, -v23
	ds_read2_b64 v[23:26], v17 offset0:8 offset1:138
	v_mul_f32_e32 v31, v19, v3
	s_waitcnt vmcnt(3)
	v_mul_f32_e32 v19, v22, v5
	v_fma_f32 v32, v21, v4, -v19
	v_mul_f32_e32 v33, v21, v5
	s_waitcnt lgkmcnt(0)
	v_mul_f32_e32 v19, v24, v7
	v_fmac_f32_e32 v31, v20, v2
	v_fmac_f32_e32 v33, v22, v4
	v_fma_f32 v34, v23, v6, -v19
	ds_read2_b64 v[19:22], v18 offset0:12 offset1:142
	v_mul_f32_e32 v35, v23, v7
	s_waitcnt vmcnt(2)
	v_mul_f32_e32 v23, v26, v9
	v_fma_f32 v36, v25, v8, -v23
	v_mul_f32_e32 v37, v25, v9
	s_waitcnt lgkmcnt(0)
	v_mul_f32_e32 v23, v20, v11
	v_fmac_f32_e32 v35, v24, v6
	v_fmac_f32_e32 v37, v26, v8
	;; [unrolled: 11-line block ×3, first 2 shown]
	v_fma_f32 v43, v23, v14, -v19
	ds_read2_b64 v[19:22], v89 offset1:130
	v_mul_f32_e32 v23, v23, v15
	v_fmac_f32_e32 v23, v24, v14
	s_waitcnt vmcnt(0)
	v_mul_f32_e32 v24, v26, v86
	v_fma_f32 v24, v25, v85, -v24
	v_mul_f32_e32 v25, v25, v86
	v_fmac_f32_e32 v25, v26, v85
	s_waitcnt lgkmcnt(0)
	v_mul_f32_e32 v26, v22, v1
	v_add_f32_e32 v40, v30, v43
	v_fma_f32 v26, v21, v0, -v26
	v_mul_f32_e32 v21, v21, v1
	v_fma_f32 v45, -0.5, v40, v19
	v_add_f32_e32 v40, v35, v39
	v_fmac_f32_e32 v21, v22, v0
	v_add_f32_e32 v22, v34, v38
	v_fma_f32 v59, -0.5, v40, v20
	v_add_f32_e32 v40, v31, v23
	v_fma_f32 v22, -0.5, v22, v19
	v_fma_f32 v53, -0.5, v40, v20
	v_sub_f32_e32 v40, v30, v34
	v_sub_f32_e32 v42, v43, v38
	v_add_f32_e32 v40, v40, v42
	v_sub_f32_e32 v42, v31, v23
	v_mov_b32_e32 v47, v22
	v_fmac_f32_e32 v47, 0x3f737871, v42
	v_sub_f32_e32 v44, v35, v39
	v_fmac_f32_e32 v22, 0xbf737871, v42
	v_fmac_f32_e32 v47, 0x3f167918, v44
	;; [unrolled: 1-line block ×3, first 2 shown]
	v_mov_b32_e32 v49, v45
	v_fmac_f32_e32 v47, 0x3e9e377a, v40
	v_fmac_f32_e32 v22, 0x3e9e377a, v40
	v_sub_f32_e32 v40, v34, v30
	v_sub_f32_e32 v46, v38, v43
	v_fmac_f32_e32 v49, 0xbf737871, v44
	v_fmac_f32_e32 v45, 0x3f737871, v44
	v_add_f32_e32 v40, v40, v46
	v_fmac_f32_e32 v49, 0x3f167918, v42
	v_fmac_f32_e32 v45, 0xbf167918, v42
	v_fmac_f32_e32 v49, 0x3e9e377a, v40
	v_fmac_f32_e32 v45, 0x3e9e377a, v40
	v_sub_f32_e32 v40, v32, v36
	v_sub_f32_e32 v42, v24, v27
	v_add_f32_e32 v40, v40, v42
	v_add_f32_e32 v42, v36, v27
	v_fma_f32 v60, -0.5, v42, v26
	v_sub_f32_e32 v42, v33, v25
	v_mov_b32_e32 v51, v60
	v_fmac_f32_e32 v51, 0x3f737871, v42
	v_sub_f32_e32 v44, v37, v41
	v_fmac_f32_e32 v60, 0xbf737871, v42
	v_fmac_f32_e32 v51, 0x3f167918, v44
	;; [unrolled: 1-line block ×5, first 2 shown]
	v_add_f32_e32 v40, v26, v32
	v_add_f32_e32 v40, v40, v36
	;; [unrolled: 1-line block ×4, first 2 shown]
	v_fmac_f32_e32 v26, -0.5, v46
	v_sub_f32_e32 v46, v36, v32
	v_sub_f32_e32 v48, v27, v24
	v_add_f32_e32 v52, v40, v24
	v_sub_f32_e32 v24, v32, v24
	v_sub_f32_e32 v27, v36, v27
	;; [unrolled: 1-line block ×4, first 2 shown]
	v_add_f32_e32 v32, v32, v36
	v_add_f32_e32 v36, v37, v41
	v_fma_f32 v36, -0.5, v36, v21
	v_mov_b32_e32 v61, v36
	v_fmac_f32_e32 v61, 0xbf737871, v24
	v_fmac_f32_e32 v36, 0x3f737871, v24
	v_add_f32_e32 v19, v19, v30
	v_fmac_f32_e32 v61, 0xbf167918, v27
	v_fmac_f32_e32 v36, 0x3f167918, v27
	v_add_f32_e32 v40, v33, v25
	v_fmac_f32_e32 v61, 0x3e9e377a, v32
	v_fmac_f32_e32 v36, 0x3e9e377a, v32
	v_add_f32_e32 v32, v21, v33
	v_fmac_f32_e32 v21, -0.5, v40
	v_add_f32_e32 v19, v19, v34
	v_mov_b32_e32 v57, v26
	v_fmac_f32_e32 v26, 0x3f737871, v44
	v_mov_b32_e32 v62, v21
	v_add_f32_e32 v19, v19, v38
	v_add_f32_e32 v20, v20, v31
	;; [unrolled: 1-line block ×3, first 2 shown]
	v_fmac_f32_e32 v26, 0xbf167918, v42
	v_sub_f32_e32 v33, v37, v33
	v_sub_f32_e32 v40, v41, v25
	v_fmac_f32_e32 v62, 0x3f737871, v27
	v_fmac_f32_e32 v21, 0xbf737871, v27
	v_add_f32_e32 v19, v19, v43
	v_fmac_f32_e32 v57, 0xbf737871, v44
	v_fmac_f32_e32 v26, 0x3e9e377a, v46
	v_add_f32_e32 v33, v33, v40
	v_fmac_f32_e32 v62, 0xbf167918, v24
	v_fmac_f32_e32 v21, 0x3f167918, v24
	v_mul_f32_e32 v24, 0x3f167918, v61
	v_add_f32_e32 v44, v19, v52
	v_sub_f32_e32 v54, v19, v52
	v_add_f32_e32 v19, v32, v37
	v_add_f32_e32 v20, v20, v35
	v_fmac_f32_e32 v57, 0x3f167918, v42
	v_fmac_f32_e32 v62, 0x3e9e377a, v33
	;; [unrolled: 1-line block ×4, first 2 shown]
	v_mul_f32_e32 v33, 0x3e9e377a, v26
	v_add_f32_e32 v19, v19, v41
	v_add_f32_e32 v20, v20, v39
	v_fmac_f32_e32 v57, 0x3e9e377a, v46
	v_add_f32_e32 v46, v47, v24
	v_fma_f32 v33, v21, s1, -v33
	v_sub_f32_e32 v48, v47, v24
	v_mul_f32_e32 v24, 0x3f4f1bbd, v60
	v_add_f32_e32 v19, v19, v25
	v_add_f32_e32 v20, v20, v23
	;; [unrolled: 1-line block ×3, first 2 shown]
	v_fma_f32 v24, v36, s3, -v24
	v_sub_f32_e32 v56, v45, v33
	v_add_f32_e32 v45, v20, v19
	v_sub_f32_e32 v55, v20, v19
	v_sub_f32_e32 v19, v30, v43
	v_mov_b32_e32 v25, v59
	v_add_f32_e32 v52, v22, v24
	v_sub_f32_e32 v58, v22, v24
	v_sub_f32_e32 v20, v34, v38
	;; [unrolled: 1-line block ×4, first 2 shown]
	v_fmac_f32_e32 v25, 0xbf737871, v19
	v_mul_f32_e32 v27, 0x3f737871, v62
	v_add_f32_e32 v22, v22, v24
	v_mul_f32_e32 v24, 0xbf167918, v51
	v_fmac_f32_e32 v25, 0xbf167918, v20
	v_fmac_f32_e32 v27, 0x3e9e377a, v57
	;; [unrolled: 1-line block ×4, first 2 shown]
	v_sub_f32_e32 v50, v49, v27
	v_add_f32_e32 v40, v49, v27
	v_add_f32_e32 v47, v25, v24
	v_sub_f32_e32 v49, v25, v24
	v_mov_b32_e32 v25, v53
	v_sub_f32_e32 v24, v35, v31
	v_sub_f32_e32 v23, v39, v23
	v_fmac_f32_e32 v25, 0x3f737871, v20
	v_fmac_f32_e32 v53, 0xbf737871, v20
	;; [unrolled: 1-line block ×3, first 2 shown]
	v_add_f32_e32 v23, v24, v23
	v_fmac_f32_e32 v25, 0xbf167918, v19
	v_fmac_f32_e32 v53, 0x3f167918, v19
	v_mul_f32_e32 v21, 0x3e9e377a, v21
	v_fmac_f32_e32 v59, 0x3f167918, v20
	v_mul_f32_e32 v19, 0x3f4f1bbd, v36
	v_mul_f32_e32 v24, 0xbf737871, v57
	v_fmac_f32_e32 v53, 0x3e9e377a, v23
	v_fma_f32 v21, v26, s0, -v21
	v_fmac_f32_e32 v59, 0x3e9e377a, v22
	v_fma_f32 v19, v60, s2, -v19
	v_fmac_f32_e32 v24, 0x3e9e377a, v62
	v_fmac_f32_e32 v25, 0x3e9e377a, v23
	v_add_f32_e32 v43, v53, v21
	v_sub_f32_e32 v57, v53, v21
	v_add_f32_e32 v53, v59, v19
	v_sub_f32_e32 v59, v59, v19
	v_mul_u32_u24_e32 v19, 0x64, v28
	s_movk_i32 s0, 0x64
	v_add_f32_e32 v41, v25, v24
	v_sub_f32_e32 v51, v25, v24
	v_add_lshl_u32 v93, v19, v29, 3
	v_cmp_gt_u16_e64 s[0:1], s0, v90
	s_barrier
	ds_write2_b64 v93, v[44:45], v[46:47] offset1:10
	ds_write2_b64 v93, v[40:41], v[42:43] offset0:20 offset1:30
	ds_write2_b64 v93, v[52:53], v[54:55] offset0:40 offset1:50
	;; [unrolled: 1-line block ×4, first 2 shown]
	s_waitcnt lgkmcnt(0)
	s_barrier
	s_waitcnt lgkmcnt(0)
                                        ; implicit-def: $vgpr60
	s_and_saveexec_b64 s[2:3], s[0:1]
	s_cbranch_execz .LBB0_3
; %bb.2:
	v_add_u32_e32 v19, 0x400, v89
	ds_read2_b64 v[44:47], v89 offset1:100
	ds_read2_b64 v[40:43], v19 offset0:72 offset1:172
	ds_read2_b64 v[52:55], v16 offset0:144 offset1:244
	ds_read2_b64 v[48:51], v17 offset0:88 offset1:188
	ds_read2_b64 v[56:59], v18 offset0:32 offset1:132
	v_add_u32_e32 v16, 0x1c00, v89
	ds_read2_b64 v[60:63], v16 offset0:104 offset1:204
	ds_read_b64 v[87:88], v89 offset:9600
.LBB0_3:
	s_or_b64 exec, exec, s[2:3]
	v_add_u32_e32 v16, 0xffffff9c, v90
	v_cndmask_b32_e64 v16, v16, v90, s[0:1]
	v_mul_hi_i32_i24_e32 v17, 0x60, v16
	v_mul_i32_i24_e32 v16, 0x60, v16
	v_mov_b32_e32 v18, s15
	v_add_co_u32_e64 v94, s[2:3], s14, v16
	v_addc_co_u32_e64 v95, s[2:3], v18, v17, s[2:3]
	global_load_dwordx4 v[28:31], v[94:95], off offset:720
	global_load_dwordx4 v[24:27], v[94:95], off offset:736
	;; [unrolled: 1-line block ×6, first 2 shown]
	s_mov_b32 s6, 0x3f62ad3f
	s_mov_b32 s7, 0x3f116cb1
	;; [unrolled: 1-line block ×6, first 2 shown]
	s_waitcnt vmcnt(5) lgkmcnt(6)
	v_mul_f32_e32 v94, v46, v29
	s_waitcnt lgkmcnt(5)
	v_mul_f32_e32 v95, v40, v31
	v_fmac_f32_e32 v94, v47, v28
	v_mul_f32_e32 v105, v47, v29
	s_waitcnt vmcnt(3) lgkmcnt(4)
	v_mul_f32_e32 v110, v55, v21
	s_waitcnt vmcnt(0) lgkmcnt(0)
	v_mul_f32_e32 v106, v87, v39
	v_mul_f32_e32 v104, v62, v37
	v_fmac_f32_e32 v106, v88, v38
	v_mul_f32_e32 v112, v51, v17
	v_mul_f32_e32 v101, v56, v19
	;; [unrolled: 1-line block ×5, first 2 shown]
	v_fmac_f32_e32 v95, v41, v30
	v_fmac_f32_e32 v104, v63, v36
	v_sub_f32_e32 v119, v94, v106
	v_mul_f32_e32 v107, v41, v31
	v_mul_f32_e32 v96, v42, v25
	;; [unrolled: 1-line block ×8, first 2 shown]
	v_fma_f32 v105, v46, v28, -v105
	v_fma_f32 v54, v54, v20, -v110
	;; [unrolled: 1-line block ×3, first 2 shown]
	v_fmac_f32_e32 v101, v57, v18
	v_fma_f32 v57, v58, v32, -v114
	v_fma_f32 v58, v60, v34, -v115
	;; [unrolled: 1-line block ×3, first 2 shown]
	v_sub_f32_e32 v120, v95, v104
	v_mul_f32_e32 v112, 0xbeedf032, v119
	v_mul_f32_e32 v108, v43, v25
	v_fma_f32 v107, v40, v30, -v107
	v_fmac_f32_e32 v96, v43, v24
	v_fmac_f32_e32 v98, v55, v20
	v_fma_f32 v55, v48, v22, -v111
	v_fma_f32 v111, v56, v18, -v113
	v_fmac_f32_e32 v102, v59, v32
	v_fmac_f32_e32 v103, v61, v34
	v_fma_f32 v59, v62, v36, -v116
	v_add_f32_e32 v46, v105, v60
	v_mul_f32_e32 v113, 0xbf52af12, v120
	v_mov_b32_e32 v40, v112
	v_fma_f32 v108, v42, v24, -v108
	v_sub_f32_e32 v123, v105, v60
	v_add_f32_e32 v47, v107, v59
	v_sub_f32_e32 v125, v96, v103
	v_mov_b32_e32 v42, v113
	v_fmac_f32_e32 v40, 0x3f62ad3f, v46
	v_mul_f32_e32 v109, v53, v27
	v_mul_f32_e32 v97, v52, v27
	;; [unrolled: 1-line block ×3, first 2 shown]
	v_add_f32_e32 v50, v94, v106
	v_sub_f32_e32 v124, v107, v59
	v_mul_f32_e32 v115, 0xbeedf032, v123
	v_fmac_f32_e32 v42, 0x3f116cb1, v47
	v_add_f32_e32 v40, v44, v40
	v_mul_f32_e32 v114, 0xbf7e222b, v125
	v_fma_f32 v109, v52, v26, -v109
	v_fmac_f32_e32 v97, v53, v26
	v_fmac_f32_e32 v100, v51, v16
	v_add_f32_e32 v51, v95, v104
	v_add_f32_e32 v52, v108, v58
	v_sub_f32_e32 v127, v108, v58
	v_mul_f32_e32 v116, 0xbf52af12, v124
	v_fma_f32 v41, v50, s6, -v115
	v_add_f32_e32 v40, v42, v40
	v_mov_b32_e32 v42, v114
	v_add_f32_e32 v53, v96, v103
	v_fma_f32 v43, v51, s7, -v116
	v_add_f32_e32 v41, v45, v41
	v_mul_f32_e32 v117, 0xbf7e222b, v127
	v_fmac_f32_e32 v42, 0x3df6dbef, v52
	v_sub_f32_e32 v130, v97, v102
	v_add_f32_e32 v41, v43, v41
	v_add_f32_e32 v40, v42, v40
	v_fma_f32 v42, v53, s12, -v117
	v_mul_f32_e32 v118, 0xbf6f5d39, v130
	v_add_f32_e32 v41, v42, v41
	v_add_f32_e32 v56, v109, v57
	v_sub_f32_e32 v131, v109, v57
	v_mov_b32_e32 v42, v118
	v_add_f32_e32 v61, v97, v102
	v_mul_f32_e32 v121, 0xbf6f5d39, v131
	v_fmac_f32_e32 v42, 0xbeb58ec6, v56
	v_sub_f32_e32 v133, v98, v101
	v_mul_f32_e32 v99, v48, v23
	v_add_f32_e32 v40, v42, v40
	v_fma_f32 v42, v61, s14, -v121
	v_mul_f32_e32 v122, 0xbf29c268, v133
	v_fmac_f32_e32 v99, v49, v22
	v_add_f32_e32 v41, v42, v41
	v_add_f32_e32 v62, v54, v111
	v_mov_b32_e32 v42, v122
	v_sub_f32_e32 v143, v54, v111
	v_fmac_f32_e32 v42, 0xbf3f9e67, v62
	v_add_f32_e32 v63, v98, v101
	v_mul_f32_e32 v126, 0xbf29c268, v143
	v_sub_f32_e32 v142, v99, v100
	v_add_f32_e32 v40, v42, v40
	v_fma_f32 v42, v63, s16, -v126
	v_mul_f32_e32 v128, 0xbe750f2a, v142
	v_add_f32_e32 v41, v42, v41
	v_add_f32_e32 v87, v55, v110
	v_mov_b32_e32 v42, v128
	v_sub_f32_e32 v147, v55, v110
	v_fmac_f32_e32 v42, 0xbf788fa5, v87
	v_add_f32_e32 v88, v99, v100
	v_mul_f32_e32 v129, 0xbe750f2a, v147
	v_add_f32_e32 v48, v42, v40
	v_fma_f32 v40, v88, s15, -v129
	v_mul_f32_e32 v132, 0xbf52af12, v119
	v_add_f32_e32 v49, v40, v41
	v_mov_b32_e32 v40, v132
	v_mul_f32_e32 v134, 0xbf6f5d39, v120
	v_fmac_f32_e32 v40, 0x3f116cb1, v46
	v_mov_b32_e32 v41, v134
	v_add_f32_e32 v40, v44, v40
	v_fmac_f32_e32 v41, 0xbeb58ec6, v47
	v_mul_f32_e32 v137, 0xbf52af12, v123
	v_add_f32_e32 v40, v41, v40
	v_fma_f32 v41, v50, s7, -v137
	v_mul_f32_e32 v139, 0xbf6f5d39, v124
	v_add_f32_e32 v41, v45, v41
	v_fma_f32 v42, v51, s14, -v139
	v_mul_f32_e32 v135, 0xbe750f2a, v125
	v_add_f32_e32 v41, v42, v41
	v_mov_b32_e32 v42, v135
	v_fmac_f32_e32 v42, 0xbf788fa5, v52
	v_mul_f32_e32 v141, 0xbe750f2a, v127
	v_add_f32_e32 v40, v42, v40
	v_fma_f32 v42, v53, s15, -v141
	v_mul_f32_e32 v136, 0x3f29c268, v130
	v_add_f32_e32 v41, v42, v41
	v_mov_b32_e32 v42, v136
	v_fmac_f32_e32 v42, 0xbf3f9e67, v56
	;; [unrolled: 7-line block ×4, first 2 shown]
	v_mul_f32_e32 v146, 0x3eedf032, v147
	v_mul_f32_e32 v148, 0xbf7e222b, v119
	v_fma_f32 v43, v88, s6, -v146
	v_add_f32_e32 v42, v42, v40
	v_mov_b32_e32 v40, v148
	v_mul_f32_e32 v149, 0xbe750f2a, v120
	v_add_f32_e32 v43, v43, v41
	v_fmac_f32_e32 v40, 0x3df6dbef, v46
	v_mov_b32_e32 v41, v149
	v_add_f32_e32 v40, v44, v40
	v_fmac_f32_e32 v41, 0xbf788fa5, v47
	v_mul_f32_e32 v150, 0x3f6f5d39, v125
	v_add_f32_e32 v40, v41, v40
	v_mov_b32_e32 v41, v150
	v_fmac_f32_e32 v41, 0xbeb58ec6, v52
	v_mul_f32_e32 v151, 0x3eedf032, v130
	v_add_f32_e32 v40, v41, v40
	v_mov_b32_e32 v41, v151
	;; [unrolled: 4-line block ×4, first 2 shown]
	v_fmac_f32_e32 v41, 0xbf3f9e67, v87
	v_mul_f32_e32 v154, 0xbf7e222b, v123
	v_add_f32_e32 v40, v41, v40
	v_fma_f32 v41, v50, s12, -v154
	v_mul_f32_e32 v155, 0xbe750f2a, v124
	v_add_f32_e32 v41, v45, v41
	v_fma_f32 v156, v51, s15, -v155
	v_add_f32_e32 v41, v156, v41
	v_mul_f32_e32 v156, 0x3f6f5d39, v127
	v_fma_f32 v157, v53, s14, -v156
	v_add_f32_e32 v41, v157, v41
	v_mul_f32_e32 v157, 0x3eedf032, v131
	;; [unrolled: 3-line block ×4, first 2 shown]
	v_fma_f32 v160, v88, s16, -v159
	v_add_f32_e32 v41, v160, v41
	s_and_saveexec_b64 s[2:3], s[0:1]
	s_cbranch_execz .LBB0_5
; %bb.4:
	v_mul_f32_e32 v200, 0xbe750f2a, v123
	v_mov_b32_e32 v160, v200
	v_mul_f32_e32 v201, 0x3eedf032, v124
	v_fmac_f32_e32 v160, 0xbf788fa5, v50
	v_mov_b32_e32 v161, v201
	v_add_f32_e32 v160, v45, v160
	v_fmac_f32_e32 v161, 0x3f62ad3f, v51
	v_mul_f32_e32 v202, 0xbf29c268, v127
	v_add_f32_e32 v160, v161, v160
	v_mov_b32_e32 v161, v202
	v_fmac_f32_e32 v161, 0xbf3f9e67, v53
	v_mul_f32_e32 v203, 0x3f52af12, v131
	v_add_f32_e32 v160, v161, v160
	v_mov_b32_e32 v161, v203
	;; [unrolled: 4-line block ×4, first 2 shown]
	v_fmac_f32_e32 v161, 0x3df6dbef, v88
	v_mul_f32_e32 v206, 0xbe750f2a, v119
	v_add_f32_e32 v161, v161, v160
	v_fma_f32 v160, v46, s15, -v206
	v_mul_f32_e32 v207, 0x3eedf032, v120
	v_add_f32_e32 v160, v44, v160
	v_fma_f32 v162, v47, s6, -v207
	;; [unrolled: 3-line block ×6, first 2 shown]
	v_mul_f32_e32 v212, 0xbf29c268, v123
	v_add_f32_e32 v160, v162, v160
	v_mov_b32_e32 v162, v212
	v_mul_f32_e32 v213, 0x3f7e222b, v124
	v_fmac_f32_e32 v162, 0xbf3f9e67, v50
	v_mov_b32_e32 v163, v213
	v_add_f32_e32 v162, v45, v162
	v_fmac_f32_e32 v163, 0x3df6dbef, v51
	v_mul_f32_e32 v214, 0xbf52af12, v127
	v_add_f32_e32 v162, v163, v162
	v_mov_b32_e32 v163, v214
	v_fmac_f32_e32 v163, 0x3f116cb1, v53
	v_mul_f32_e32 v215, 0x3e750f2a, v131
	v_add_f32_e32 v162, v163, v162
	v_mov_b32_e32 v163, v215
	;; [unrolled: 4-line block ×4, first 2 shown]
	v_fmac_f32_e32 v163, 0xbeb58ec6, v88
	v_mul_f32_e32 v218, 0xbf29c268, v119
	v_add_f32_e32 v163, v163, v162
	v_fma_f32 v162, v46, s16, -v218
	v_mul_f32_e32 v219, 0x3f7e222b, v120
	v_add_f32_e32 v162, v44, v162
	v_fma_f32 v220, v47, s12, -v219
	v_add_f32_e32 v162, v220, v162
	v_mul_f32_e32 v220, 0xbf52af12, v125
	v_fma_f32 v221, v52, s7, -v220
	v_add_f32_e32 v162, v221, v162
	v_mul_f32_e32 v221, 0x3e750f2a, v130
	;; [unrolled: 3-line block ×5, first 2 shown]
	v_mov_b32_e32 v123, v224
	v_mul_f32_e32 v225, 0x3f29c268, v124
	v_fmac_f32_e32 v123, 0xbeb58ec6, v50
	v_mov_b32_e32 v124, v225
	v_add_f32_e32 v123, v45, v123
	v_fmac_f32_e32 v124, 0xbf3f9e67, v51
	v_mul_f32_e32 v127, 0x3eedf032, v127
	v_add_f32_e32 v123, v124, v123
	v_mov_b32_e32 v124, v127
	v_fmac_f32_e32 v124, 0x3f62ad3f, v53
	v_mul_f32_e32 v226, 0xbf7e222b, v131
	v_mul_f32_e32 v227, 0xbf6f5d39, v119
	v_add_f32_e32 v94, v45, v94
	v_add_f32_e32 v123, v124, v123
	v_mov_b32_e32 v124, v226
	v_fma_f32 v119, v46, s14, -v227
	v_mul_f32_e32 v228, 0x3f29c268, v120
	v_add_f32_e32 v94, v94, v95
	v_fmac_f32_e32 v124, 0x3df6dbef, v61
	v_mul_f32_e32 v143, 0x3e750f2a, v143
	v_add_f32_e32 v119, v44, v119
	v_fma_f32 v120, v47, s16, -v228
	v_mul_f32_e32 v125, 0x3eedf032, v125
	v_add_f32_e32 v94, v94, v96
	v_add_f32_e32 v123, v124, v123
	v_mov_b32_e32 v124, v143
	v_add_f32_e32 v119, v120, v119
	v_fma_f32 v120, v52, s6, -v125
	v_mul_f32_e32 v229, 0xbf7e222b, v130
	v_add_f32_e32 v94, v94, v97
	v_fmac_f32_e32 v124, 0xbf788fa5, v63
	v_mul_f32_e32 v147, 0x3f52af12, v147
	v_add_f32_e32 v119, v120, v119
	v_fma_f32 v120, v56, s12, -v229
	v_mul_f32_e32 v133, 0x3e750f2a, v133
	v_add_f32_e32 v94, v94, v98
	v_add_f32_e32 v123, v124, v123
	v_mov_b32_e32 v124, v147
	v_add_f32_e32 v119, v120, v119
	v_fma_f32 v120, v62, s15, -v133
	v_mul_f32_e32 v142, 0x3f52af12, v142
	v_add_f32_e32 v94, v94, v99
	v_mul_f32_e32 v169, 0x3df6dbef, v50
	v_fmac_f32_e32 v124, 0x3f116cb1, v88
	v_add_f32_e32 v119, v120, v119
	v_fma_f32 v120, v87, s7, -v142
	v_add_f32_e32 v94, v94, v100
	v_mul_f32_e32 v175, 0xbf788fa5, v51
	v_add_f32_e32 v124, v124, v123
	v_add_f32_e32 v123, v120, v119
	;; [unrolled: 1-line block ×4, first 2 shown]
	v_mul_f32_e32 v181, 0xbeb58ec6, v53
	v_add_f32_e32 v119, v45, v119
	v_add_f32_e32 v120, v155, v175
	v_add_f32_e32 v94, v94, v102
	v_mul_f32_e32 v187, 0x3f62ad3f, v61
	v_add_f32_e32 v119, v120, v119
	v_add_f32_e32 v120, v156, v181
	v_add_f32_e32 v94, v94, v103
	;; [unrolled: 4-line block ×4, first 2 shown]
	v_add_f32_e32 v94, v44, v105
	v_mul_f32_e32 v168, 0x3df6dbef, v46
	v_add_f32_e32 v119, v120, v119
	v_add_f32_e32 v120, v159, v199
	;; [unrolled: 1-line block ×3, first 2 shown]
	v_mul_f32_e32 v174, 0xbf788fa5, v47
	v_add_f32_e32 v120, v120, v119
	v_sub_f32_e32 v119, v168, v148
	v_add_f32_e32 v94, v94, v108
	v_mul_f32_e32 v180, 0xbeb58ec6, v52
	v_add_f32_e32 v119, v44, v119
	v_sub_f32_e32 v130, v174, v149
	v_add_f32_e32 v94, v94, v109
	;; [unrolled: 4-line block ×6, first 2 shown]
	v_mul_f32_e32 v173, 0xbeb58ec6, v51
	v_add_f32_e32 v119, v130, v119
	v_add_f32_e32 v130, v137, v167
	v_add_f32_e32 v54, v54, v57
	v_mul_f32_e32 v179, 0xbf788fa5, v53
	v_add_f32_e32 v130, v45, v130
	v_add_f32_e32 v131, v139, v173
	v_add_f32_e32 v54, v54, v58
	;; [unrolled: 4-line block ×4, first 2 shown]
	v_fma_f32 v54, v50, s15, -v200
	v_mul_f32_e32 v197, 0x3f62ad3f, v88
	v_add_f32_e32 v130, v131, v130
	v_add_f32_e32 v131, v145, v191
	;; [unrolled: 1-line block ×3, first 2 shown]
	v_fma_f32 v55, v51, s6, -v201
	v_fma_f32 v57, v50, s16, -v212
	v_mul_f32_e32 v166, 0x3f116cb1, v46
	v_add_f32_e32 v130, v131, v130
	v_add_f32_e32 v131, v146, v197
	;; [unrolled: 1-line block ×3, first 2 shown]
	v_fma_f32 v55, v53, s16, -v202
	v_add_f32_e32 v57, v45, v57
	v_fma_f32 v58, v51, s12, -v213
	v_mul_f32_e32 v172, 0xbeb58ec6, v47
	v_add_f32_e32 v131, v131, v130
	v_sub_f32_e32 v130, v166, v132
	v_add_f32_e32 v54, v55, v54
	v_fma_f32 v55, v61, s7, -v203
	v_add_f32_e32 v57, v58, v57
	v_fma_f32 v58, v53, s7, -v214
	v_mul_f32_e32 v178, 0xbf788fa5, v52
	v_add_f32_e32 v130, v44, v130
	v_sub_f32_e32 v132, v172, v134
	v_add_f32_e32 v54, v55, v54
	v_fma_f32 v55, v63, s14, -v204
	v_add_f32_e32 v57, v58, v57
	v_fma_f32 v58, v61, s15, -v215
	v_mul_f32_e32 v164, 0x3f62ad3f, v46
	v_mul_f32_e32 v165, 0x3f62ad3f, v50
	;; [unrolled: 1-line block ×3, first 2 shown]
	v_add_f32_e32 v130, v132, v130
	v_sub_f32_e32 v132, v178, v135
	v_add_f32_e32 v54, v55, v54
	v_fma_f32 v55, v88, s12, -v205
	v_fmac_f32_e32 v206, 0xbf788fa5, v46
	v_add_f32_e32 v57, v58, v57
	v_fma_f32 v58, v63, s6, -v216
	v_mul_f32_e32 v190, 0x3df6dbef, v62
	v_add_f32_e32 v130, v132, v130
	v_sub_f32_e32 v132, v184, v136
	v_add_f32_e32 v115, v115, v165
	v_sub_f32_e32 v112, v164, v112
	v_add_f32_e32 v55, v55, v54
	v_add_f32_e32 v54, v44, v206
	v_fmac_f32_e32 v207, 0x3f62ad3f, v47
	v_add_f32_e32 v57, v58, v57
	v_fma_f32 v58, v88, s14, -v217
	v_fmac_f32_e32 v218, 0xbf3f9e67, v46
	v_fma_f32 v50, v50, s14, -v224
	v_fmac_f32_e32 v227, 0xbeb58ec6, v46
	v_mul_f32_e32 v170, 0x3f116cb1, v47
	v_mul_f32_e32 v171, 0x3f116cb1, v51
	;; [unrolled: 1-line block ×3, first 2 shown]
	v_add_f32_e32 v130, v132, v130
	v_sub_f32_e32 v132, v190, v138
	v_add_f32_e32 v115, v45, v115
	v_add_f32_e32 v112, v44, v112
	;; [unrolled: 1-line block ×3, first 2 shown]
	v_fmac_f32_e32 v208, 0xbf3f9e67, v52
	v_add_f32_e32 v58, v58, v57
	v_add_f32_e32 v57, v44, v218
	v_fmac_f32_e32 v219, 0x3df6dbef, v47
	v_add_f32_e32 v45, v45, v50
	v_fma_f32 v50, v51, s16, -v225
	v_add_f32_e32 v44, v44, v227
	v_fmac_f32_e32 v228, 0xbf3f9e67, v47
	v_mul_f32_e32 v176, 0x3df6dbef, v52
	v_mul_f32_e32 v177, 0x3df6dbef, v53
	v_add_f32_e32 v130, v132, v130
	v_sub_f32_e32 v132, v196, v140
	v_add_f32_e32 v116, v116, v171
	v_sub_f32_e32 v113, v170, v113
	v_add_f32_e32 v54, v208, v54
	v_fmac_f32_e32 v209, 0x3f116cb1, v56
	v_add_f32_e32 v57, v219, v57
	v_fmac_f32_e32 v220, 0x3f116cb1, v52
	v_add_f32_e32 v45, v50, v45
	v_fma_f32 v50, v53, s6, -v127
	v_add_f32_e32 v44, v228, v44
	v_fmac_f32_e32 v125, 0x3f62ad3f, v52
	v_mul_f32_e32 v182, 0xbeb58ec6, v56
	v_mul_f32_e32 v183, 0xbeb58ec6, v61
	v_add_f32_e32 v130, v132, v130
	v_add_f32_e32 v115, v116, v115
	v_add_f32_e32 v116, v117, v177
	v_add_f32_e32 v112, v113, v112
	v_sub_f32_e32 v113, v176, v114
	v_add_f32_e32 v54, v209, v54
	v_fmac_f32_e32 v210, 0xbeb58ec6, v62
	v_add_f32_e32 v57, v220, v57
	v_fmac_f32_e32 v221, 0xbf788fa5, v56
	v_add_f32_e32 v45, v50, v45
	v_fma_f32 v50, v61, s12, -v226
	v_add_f32_e32 v44, v125, v44
	v_fmac_f32_e32 v229, 0x3df6dbef, v56
	v_add_u32_e32 v46, 0x400, v89
	v_mul_f32_e32 v188, 0xbf3f9e67, v62
	v_mul_f32_e32 v189, 0xbf3f9e67, v63
	v_add_f32_e32 v115, v116, v115
	v_add_f32_e32 v116, v121, v183
	;; [unrolled: 1-line block ×3, first 2 shown]
	v_sub_f32_e32 v113, v182, v118
	v_add_f32_e32 v54, v210, v54
	v_fmac_f32_e32 v211, 0x3df6dbef, v87
	v_add_f32_e32 v57, v221, v57
	v_fmac_f32_e32 v222, 0x3f62ad3f, v62
	v_add_f32_e32 v45, v50, v45
	v_fma_f32 v50, v63, s15, -v143
	v_add_f32_e32 v44, v229, v44
	v_fmac_f32_e32 v133, 0xbf788fa5, v62
	ds_write2_b64 v46, v[130:131], v[119:120] offset0:72 offset1:172
	v_add_u32_e32 v46, 0x800, v89
	v_mul_f32_e32 v194, 0xbf788fa5, v87
	v_mul_f32_e32 v195, 0xbf788fa5, v88
	v_add_f32_e32 v115, v116, v115
	v_add_f32_e32 v116, v126, v189
	;; [unrolled: 1-line block ×3, first 2 shown]
	v_sub_f32_e32 v113, v188, v122
	v_add_f32_e32 v54, v211, v54
	v_add_f32_e32 v57, v222, v57
	v_fmac_f32_e32 v223, 0xbeb58ec6, v87
	v_add_f32_e32 v45, v50, v45
	v_fma_f32 v50, v88, s7, -v147
	v_add_f32_e32 v44, v133, v44
	v_fmac_f32_e32 v142, 0x3f116cb1, v87
	ds_write2_b64 v46, v[123:124], v[162:163] offset0:144 offset1:244
	v_add_u32_e32 v46, 0x1000, v89
	v_add_f32_e32 v115, v116, v115
	v_add_f32_e32 v116, v129, v195
	;; [unrolled: 1-line block ×3, first 2 shown]
	v_sub_f32_e32 v113, v194, v128
	v_add_f32_e32 v57, v223, v57
	v_add_f32_e32 v45, v50, v45
	;; [unrolled: 1-line block ×3, first 2 shown]
	ds_write2_b64 v46, v[160:161], v[54:55] offset0:88 offset1:188
	v_add_u32_e32 v46, 0x1800, v89
	v_add_f32_e32 v115, v116, v115
	v_add_f32_e32 v114, v113, v112
	ds_write2_b64 v46, v[57:58], v[44:45] offset0:32 offset1:132
	v_add_u32_e32 v44, 0x1c00, v89
	ds_write2_b64 v89, v[94:95], v[114:115] offset1:100
	ds_write2_b64 v44, v[40:41], v[42:43] offset0:104 offset1:204
	ds_write_b64 v89, v[48:49] offset:9600
.LBB0_5:
	s_or_b64 exec, exec, s[2:3]
	v_mov_b32_e32 v44, s13
	v_addc_co_u32_e32 v47, vcc, 0, v44, vcc
	v_add_co_u32_e32 v44, vcc, 0x28a0, v91
	s_mov_b64 s[2:3], vcc
	v_add_co_u32_e32 v45, vcc, 0x2000, v91
	v_addc_co_u32_e32 v46, vcc, 0, v47, vcc
	s_waitcnt lgkmcnt(0)
	s_barrier
	global_load_dwordx2 v[53:54], v[45:46], off offset:2208
	v_addc_co_u32_e64 v45, vcc, 0, v47, s[2:3]
	global_load_dwordx2 v[55:56], v[44:45], off offset:1040
	global_load_dwordx2 v[61:62], v[44:45], off offset:2080
	;; [unrolled: 1-line block ×3, first 2 shown]
	s_movk_i32 s2, 0x3000
	v_add_co_u32_e32 v44, vcc, s2, v91
	v_addc_co_u32_e32 v45, vcc, 0, v47, vcc
	s_movk_i32 s2, 0x4000
	global_load_dwordx2 v[98:99], v[44:45], off offset:2272
	global_load_dwordx2 v[100:101], v[44:45], off offset:3312
	v_add_co_u32_e32 v44, vcc, s2, v91
	v_addc_co_u32_e32 v45, vcc, 0, v47, vcc
	global_load_dwordx2 v[102:103], v[44:45], off offset:256
	global_load_dwordx2 v[104:105], v[44:45], off offset:1296
	;; [unrolled: 1-line block ×4, first 2 shown]
	ds_read2_b64 v[44:47], v89 offset1:130
	v_add_u32_e32 v52, 0x800, v89
	v_add_u32_e32 v51, 0x1000, v89
	;; [unrolled: 1-line block ×4, first 2 shown]
	s_waitcnt vmcnt(9) lgkmcnt(0)
	v_mul_f32_e32 v58, v45, v54
	v_mul_f32_e32 v57, v44, v54
	s_waitcnt vmcnt(8)
	v_mul_f32_e32 v59, v47, v56
	v_mul_f32_e32 v54, v46, v56
	v_fma_f32 v56, v44, v53, -v58
	v_fmac_f32_e32 v57, v45, v53
	v_fma_f32 v53, v46, v55, -v59
	v_fmac_f32_e32 v54, v47, v55
	ds_write2_b64 v89, v[56:57], v[53:54] offset1:130
	ds_read2_b64 v[44:47], v52 offset0:4 offset1:134
	ds_read2_b64 v[53:56], v51 offset0:8 offset1:138
	ds_read2_b64 v[57:60], v50 offset0:12 offset1:142
	ds_read2_b64 v[94:97], v91 offset0:16 offset1:146
	s_waitcnt vmcnt(5) lgkmcnt(2)
	v_mul_f32_e32 v113, v54, v99
	v_mul_f32_e32 v111, v45, v62
	;; [unrolled: 1-line block ×6, first 2 shown]
	s_waitcnt vmcnt(4)
	v_mul_f32_e32 v114, v56, v101
	v_mul_f32_e32 v99, v55, v101
	s_waitcnt vmcnt(3) lgkmcnt(1)
	v_mul_f32_e32 v115, v58, v103
	v_mul_f32_e32 v101, v57, v103
	s_waitcnt vmcnt(2)
	v_mul_f32_e32 v116, v60, v105
	v_mul_f32_e32 v103, v59, v105
	s_waitcnt vmcnt(1) lgkmcnt(0)
	v_mul_f32_e32 v117, v95, v107
	v_mul_f32_e32 v105, v94, v107
	s_waitcnt vmcnt(0)
	v_mul_f32_e32 v118, v97, v109
	v_mul_f32_e32 v107, v96, v109
	v_fma_f32 v62, v44, v61, -v111
	v_fmac_f32_e32 v63, v45, v61
	v_fma_f32 v109, v46, v87, -v112
	v_fmac_f32_e32 v110, v47, v87
	;; [unrolled: 2-line block ×8, first 2 shown]
	ds_write2_b64 v52, v[62:63], v[109:110] offset0:4 offset1:134
	ds_write2_b64 v51, v[87:88], v[98:99] offset0:8 offset1:138
	;; [unrolled: 1-line block ×4, first 2 shown]
	s_waitcnt lgkmcnt(0)
	s_barrier
	ds_read2_b64 v[44:47], v89 offset1:130
	ds_read2_b64 v[53:56], v52 offset0:4 offset1:134
	ds_read2_b64 v[57:60], v51 offset0:8 offset1:138
	;; [unrolled: 1-line block ×4, first 2 shown]
	s_waitcnt lgkmcnt(0)
	v_add_f32_e32 v61, v44, v53
	v_sub_f32_e32 v102, v53, v57
	v_add_f32_e32 v62, v57, v94
	v_fma_f32 v62, -0.5, v62, v44
	v_sub_f32_e32 v63, v54, v99
	v_mov_b32_e32 v87, v62
	v_fmac_f32_e32 v87, 0xbf737871, v63
	v_sub_f32_e32 v88, v58, v95
	v_sub_f32_e32 v103, v98, v94
	v_fmac_f32_e32 v62, 0x3f737871, v63
	v_fmac_f32_e32 v87, 0xbf167918, v88
	v_add_f32_e32 v102, v102, v103
	v_fmac_f32_e32 v62, 0x3f167918, v88
	v_fmac_f32_e32 v87, 0x3e9e377a, v102
	;; [unrolled: 1-line block ×3, first 2 shown]
	v_add_f32_e32 v102, v53, v98
	v_fma_f32 v102, -0.5, v102, v44
	v_mov_b32_e32 v103, v102
	v_fmac_f32_e32 v103, 0x3f737871, v88
	v_sub_f32_e32 v44, v57, v53
	v_sub_f32_e32 v104, v94, v98
	v_fmac_f32_e32 v102, 0xbf737871, v88
	v_fmac_f32_e32 v103, 0xbf167918, v63
	v_add_f32_e32 v44, v44, v104
	v_fmac_f32_e32 v102, 0x3f167918, v63
	v_fmac_f32_e32 v103, 0x3e9e377a, v44
	;; [unrolled: 1-line block ×3, first 2 shown]
	v_add_f32_e32 v44, v45, v54
	v_add_f32_e32 v44, v44, v58
	v_add_f32_e32 v44, v44, v95
	v_add_f32_e32 v63, v44, v99
	v_add_f32_e32 v44, v58, v95
	v_fma_f32 v88, -0.5, v44, v45
	v_add_f32_e32 v61, v61, v57
	v_sub_f32_e32 v44, v53, v98
	v_mov_b32_e32 v104, v88
	v_add_f32_e32 v61, v61, v94
	v_fmac_f32_e32 v104, 0x3f737871, v44
	v_sub_f32_e32 v53, v57, v94
	v_sub_f32_e32 v57, v54, v58
	;; [unrolled: 1-line block ×3, first 2 shown]
	v_fmac_f32_e32 v88, 0xbf737871, v44
	v_fmac_f32_e32 v104, 0x3f167918, v53
	v_add_f32_e32 v57, v57, v94
	v_fmac_f32_e32 v88, 0xbf167918, v53
	v_fmac_f32_e32 v104, 0x3e9e377a, v57
	;; [unrolled: 1-line block ×3, first 2 shown]
	v_add_f32_e32 v57, v54, v99
	v_fma_f32 v105, -0.5, v57, v45
	v_mov_b32_e32 v106, v105
	v_fmac_f32_e32 v106, 0xbf737871, v53
	v_fmac_f32_e32 v105, 0x3f737871, v53
	;; [unrolled: 1-line block ×4, first 2 shown]
	v_add_f32_e32 v44, v46, v55
	v_add_f32_e32 v44, v44, v59
	;; [unrolled: 1-line block ×3, first 2 shown]
	v_sub_f32_e32 v45, v58, v54
	v_sub_f32_e32 v54, v95, v99
	v_add_f32_e32 v94, v44, v100
	v_add_f32_e32 v44, v59, v96
	;; [unrolled: 1-line block ×3, first 2 shown]
	v_fma_f32 v58, -0.5, v44, v46
	v_fmac_f32_e32 v106, 0x3e9e377a, v45
	v_fmac_f32_e32 v105, 0x3e9e377a, v45
	v_sub_f32_e32 v44, v56, v101
	v_mov_b32_e32 v45, v58
	v_fmac_f32_e32 v45, 0xbf737871, v44
	v_sub_f32_e32 v53, v60, v97
	v_sub_f32_e32 v54, v55, v59
	;; [unrolled: 1-line block ×3, first 2 shown]
	v_fmac_f32_e32 v58, 0x3f737871, v44
	v_fmac_f32_e32 v45, 0xbf167918, v53
	v_add_f32_e32 v54, v54, v57
	v_fmac_f32_e32 v58, 0x3f167918, v53
	v_fmac_f32_e32 v45, 0x3e9e377a, v54
	v_fmac_f32_e32 v58, 0x3e9e377a, v54
	v_add_f32_e32 v54, v55, v100
	v_fma_f32 v95, -0.5, v54, v46
	v_add_f32_e32 v61, v61, v98
	v_mov_b32_e32 v98, v95
	v_fmac_f32_e32 v98, 0x3f737871, v53
	v_fmac_f32_e32 v95, 0xbf737871, v53
	;; [unrolled: 1-line block ×4, first 2 shown]
	v_add_f32_e32 v44, v47, v56
	v_add_f32_e32 v44, v44, v60
	;; [unrolled: 1-line block ×5, first 2 shown]
	v_sub_f32_e32 v46, v59, v55
	v_sub_f32_e32 v54, v96, v100
	v_fma_f32 v107, -0.5, v44, v47
	v_add_f32_e32 v46, v46, v54
	v_sub_f32_e32 v44, v55, v100
	v_mov_b32_e32 v100, v107
	v_fmac_f32_e32 v98, 0x3e9e377a, v46
	v_fmac_f32_e32 v95, 0x3e9e377a, v46
	;; [unrolled: 1-line block ×3, first 2 shown]
	v_sub_f32_e32 v46, v59, v96
	v_sub_f32_e32 v53, v56, v60
	;; [unrolled: 1-line block ×3, first 2 shown]
	v_fmac_f32_e32 v107, 0xbf737871, v44
	v_fmac_f32_e32 v100, 0x3f167918, v46
	v_add_f32_e32 v53, v53, v54
	v_fmac_f32_e32 v107, 0xbf167918, v46
	v_fmac_f32_e32 v100, 0x3e9e377a, v53
	;; [unrolled: 1-line block ×3, first 2 shown]
	v_add_f32_e32 v53, v56, v101
	v_fmac_f32_e32 v47, -0.5, v53
	v_mov_b32_e32 v59, v47
	v_fmac_f32_e32 v59, 0xbf737871, v46
	v_sub_f32_e32 v53, v60, v56
	v_sub_f32_e32 v54, v97, v101
	v_fmac_f32_e32 v47, 0x3f737871, v46
	v_fmac_f32_e32 v59, 0x3f167918, v44
	v_add_f32_e32 v53, v53, v54
	v_fmac_f32_e32 v47, 0xbf167918, v44
	v_fmac_f32_e32 v59, 0x3e9e377a, v53
	;; [unrolled: 1-line block ×3, first 2 shown]
	v_mul_f32_e32 v60, 0xbf167918, v100
	v_mul_f32_e32 v96, 0xbf737871, v59
	;; [unrolled: 1-line block ×8, first 2 shown]
	v_fmac_f32_e32 v60, 0x3f4f1bbd, v45
	v_fmac_f32_e32 v96, 0x3e9e377a, v98
	;; [unrolled: 1-line block ×8, first 2 shown]
	v_add_f32_e32 v53, v61, v94
	v_add_f32_e32 v55, v87, v60
	;; [unrolled: 1-line block ×10, first 2 shown]
	v_sub_f32_e32 v59, v61, v94
	v_sub_f32_e32 v94, v87, v60
	v_sub_f32_e32 v96, v103, v96
	v_sub_f32_e32 v98, v102, v97
	v_sub_f32_e32 v100, v62, v101
	v_sub_f32_e32 v60, v63, v99
	v_sub_f32_e32 v95, v104, v108
	v_sub_f32_e32 v97, v106, v109
	v_sub_f32_e32 v99, v105, v110
	v_sub_f32_e32 v101, v88, v107
	s_barrier
	ds_write_b128 v92, v[53:56]
	ds_write_b128 v92, v[44:47] offset:16
	ds_write_b128 v92, v[57:60] offset:32
	;; [unrolled: 1-line block ×4, first 2 shown]
	s_waitcnt lgkmcnt(0)
	s_barrier
	ds_read2_b64 v[44:47], v89 offset1:130
	ds_read2_b64 v[53:56], v52 offset0:4 offset1:134
	ds_read2_b64 v[57:60], v51 offset0:8 offset1:138
	;; [unrolled: 1-line block ×4, first 2 shown]
	s_waitcnt lgkmcnt(4)
	v_mul_f32_e32 v61, v1, v47
	v_mul_f32_e32 v1, v1, v46
	v_fmac_f32_e32 v61, v0, v46
	v_fma_f32 v46, v0, v47, -v1
	s_waitcnt lgkmcnt(3)
	v_mul_f32_e32 v0, v3, v54
	v_mul_f32_e32 v1, v3, v53
	v_fmac_f32_e32 v0, v2, v53
	v_fma_f32 v1, v2, v54, -v1
	v_mul_f32_e32 v2, v5, v56
	v_mul_f32_e32 v3, v5, v55
	v_fmac_f32_e32 v2, v4, v55
	v_fma_f32 v3, v4, v56, -v3
	s_waitcnt lgkmcnt(2)
	v_mul_f32_e32 v4, v7, v58
	v_mul_f32_e32 v5, v7, v57
	v_fmac_f32_e32 v4, v6, v57
	v_fma_f32 v5, v6, v58, -v5
	v_mul_f32_e32 v6, v9, v60
	v_mul_f32_e32 v7, v9, v59
	v_fmac_f32_e32 v6, v8, v59
	v_fma_f32 v7, v8, v60, -v7
	s_waitcnt lgkmcnt(1)
	v_mul_f32_e32 v8, v11, v95
	v_fmac_f32_e32 v8, v10, v94
	v_mul_f32_e32 v9, v11, v94
	v_fma_f32 v9, v10, v95, -v9
	v_mul_f32_e32 v10, v13, v97
	v_mul_f32_e32 v11, v13, v96
	s_waitcnt lgkmcnt(0)
	v_mul_f32_e32 v13, v15, v98
	v_add_f32_e32 v53, v4, v8
	v_fmac_f32_e32 v10, v12, v96
	v_fma_f32 v11, v12, v97, -v11
	v_mul_f32_e32 v12, v15, v99
	v_fma_f32 v13, v14, v99, -v13
	v_fma_f32 v53, -0.5, v53, v44
	v_fmac_f32_e32 v12, v14, v98
	v_sub_f32_e32 v54, v1, v13
	v_mov_b32_e32 v55, v53
	v_fmac_f32_e32 v55, 0xbf737871, v54
	v_sub_f32_e32 v56, v5, v9
	v_sub_f32_e32 v57, v0, v4
	;; [unrolled: 1-line block ×3, first 2 shown]
	v_fmac_f32_e32 v53, 0x3f737871, v54
	v_fmac_f32_e32 v55, 0xbf167918, v56
	v_add_f32_e32 v57, v57, v58
	v_fmac_f32_e32 v53, 0x3f167918, v56
	v_fmac_f32_e32 v55, 0x3e9e377a, v57
	;; [unrolled: 1-line block ×3, first 2 shown]
	v_add_f32_e32 v57, v0, v12
	v_add_f32_e32 v47, v44, v0
	v_fma_f32 v44, -0.5, v57, v44
	v_mov_b32_e32 v57, v44
	v_fmac_f32_e32 v57, 0x3f737871, v56
	v_sub_f32_e32 v58, v4, v0
	v_sub_f32_e32 v59, v8, v12
	v_fmac_f32_e32 v44, 0xbf737871, v56
	v_add_f32_e32 v56, v5, v9
	v_add_f32_e32 v47, v47, v4
	v_fmac_f32_e32 v57, 0xbf167918, v54
	v_add_f32_e32 v58, v58, v59
	v_fmac_f32_e32 v44, 0x3f167918, v54
	v_fma_f32 v56, -0.5, v56, v45
	v_add_f32_e32 v47, v47, v8
	v_fmac_f32_e32 v57, 0x3e9e377a, v58
	v_fmac_f32_e32 v44, 0x3e9e377a, v58
	v_sub_f32_e32 v0, v0, v12
	v_mov_b32_e32 v58, v56
	v_add_f32_e32 v47, v47, v12
	v_fmac_f32_e32 v58, 0x3f737871, v0
	v_sub_f32_e32 v4, v4, v8
	v_sub_f32_e32 v8, v1, v5
	;; [unrolled: 1-line block ×3, first 2 shown]
	v_fmac_f32_e32 v56, 0xbf737871, v0
	v_fmac_f32_e32 v58, 0x3f167918, v4
	v_add_f32_e32 v8, v8, v12
	v_fmac_f32_e32 v56, 0xbf167918, v4
	v_fmac_f32_e32 v58, 0x3e9e377a, v8
	;; [unrolled: 1-line block ×3, first 2 shown]
	v_add_f32_e32 v8, v1, v13
	v_add_f32_e32 v54, v45, v1
	v_fma_f32 v45, -0.5, v8, v45
	v_mov_b32_e32 v59, v45
	v_fmac_f32_e32 v59, 0xbf737871, v4
	v_fmac_f32_e32 v45, 0x3f737871, v4
	;; [unrolled: 1-line block ×4, first 2 shown]
	v_add_f32_e32 v0, v61, v2
	v_mul_f32_e32 v14, v86, v101
	v_add_f32_e32 v0, v0, v6
	v_fmac_f32_e32 v14, v85, v100
	v_add_f32_e32 v0, v0, v10
	v_mul_f32_e32 v15, v86, v100
	v_add_f32_e32 v54, v54, v5
	v_sub_f32_e32 v1, v5, v1
	v_sub_f32_e32 v5, v9, v13
	v_add_f32_e32 v8, v0, v14
	v_add_f32_e32 v0, v6, v10
	v_fma_f32 v15, v85, v101, -v15
	v_add_f32_e32 v1, v1, v5
	v_fma_f32 v5, -0.5, v0, v61
	v_add_f32_e32 v54, v54, v9
	v_sub_f32_e32 v0, v3, v15
	v_mov_b32_e32 v9, v5
	v_fmac_f32_e32 v59, 0x3e9e377a, v1
	v_fmac_f32_e32 v45, 0x3e9e377a, v1
	;; [unrolled: 1-line block ×3, first 2 shown]
	v_sub_f32_e32 v1, v7, v11
	v_sub_f32_e32 v4, v2, v6
	;; [unrolled: 1-line block ×3, first 2 shown]
	v_fmac_f32_e32 v5, 0x3f737871, v0
	v_fmac_f32_e32 v9, 0xbf167918, v1
	v_add_f32_e32 v4, v4, v12
	v_fmac_f32_e32 v5, 0x3f167918, v1
	v_fmac_f32_e32 v9, 0x3e9e377a, v4
	;; [unrolled: 1-line block ×3, first 2 shown]
	v_add_f32_e32 v4, v2, v14
	v_fmac_f32_e32 v61, -0.5, v4
	v_add_f32_e32 v54, v54, v13
	v_mov_b32_e32 v13, v61
	v_fmac_f32_e32 v13, 0x3f737871, v1
	v_fmac_f32_e32 v61, 0xbf737871, v1
	;; [unrolled: 1-line block ×4, first 2 shown]
	v_add_f32_e32 v0, v46, v3
	v_add_f32_e32 v0, v0, v7
	;; [unrolled: 1-line block ×5, first 2 shown]
	v_sub_f32_e32 v4, v6, v2
	v_sub_f32_e32 v12, v10, v14
	v_fma_f32 v62, -0.5, v0, v46
	v_add_f32_e32 v4, v4, v12
	v_sub_f32_e32 v0, v2, v14
	v_mov_b32_e32 v63, v62
	v_fmac_f32_e32 v13, 0x3e9e377a, v4
	v_fmac_f32_e32 v61, 0x3e9e377a, v4
	;; [unrolled: 1-line block ×3, first 2 shown]
	v_sub_f32_e32 v1, v6, v10
	v_sub_f32_e32 v2, v3, v7
	;; [unrolled: 1-line block ×3, first 2 shown]
	v_fmac_f32_e32 v62, 0xbf737871, v0
	v_fmac_f32_e32 v63, 0x3f167918, v1
	v_add_f32_e32 v2, v2, v4
	v_fmac_f32_e32 v62, 0xbf167918, v1
	v_fmac_f32_e32 v63, 0x3e9e377a, v2
	v_fmac_f32_e32 v62, 0x3e9e377a, v2
	v_add_f32_e32 v2, v3, v15
	v_fmac_f32_e32 v46, -0.5, v2
	v_mov_b32_e32 v6, v46
	v_sub_f32_e32 v2, v7, v3
	v_sub_f32_e32 v3, v11, v15
	v_fmac_f32_e32 v46, 0x3f737871, v1
	v_fmac_f32_e32 v6, 0xbf737871, v1
	v_add_f32_e32 v2, v2, v3
	v_fmac_f32_e32 v46, 0xbf167918, v0
	v_fmac_f32_e32 v6, 0x3f167918, v0
	;; [unrolled: 1-line block ×4, first 2 shown]
	v_mul_f32_e32 v11, 0xbf737871, v46
	v_mul_f32_e32 v87, 0xbe9e377a, v46
	;; [unrolled: 1-line block ×4, first 2 shown]
	v_fmac_f32_e32 v11, 0xbe9e377a, v61
	v_mul_f32_e32 v85, 0xbf167918, v62
	v_mul_f32_e32 v63, 0x3f4f1bbd, v63
	;; [unrolled: 1-line block ×3, first 2 shown]
	v_fmac_f32_e32 v87, 0x3f737871, v61
	v_mul_f32_e32 v61, 0xbf4f1bbd, v62
	v_fmac_f32_e32 v7, 0x3f4f1bbd, v9
	v_fmac_f32_e32 v10, 0x3e9e377a, v13
	;; [unrolled: 1-line block ×6, first 2 shown]
	v_add_f32_e32 v0, v47, v8
	v_add_f32_e32 v2, v55, v7
	;; [unrolled: 1-line block ×10, first 2 shown]
	v_sub_f32_e32 v6, v47, v8
	v_sub_f32_e32 v8, v55, v7
	;; [unrolled: 1-line block ×10, first 2 shown]
	s_barrier
	ds_write2_b64 v93, v[0:1], v[2:3] offset1:10
	ds_write2_b64 v93, v[12:13], v[14:15] offset0:20 offset1:30
	ds_write2_b64 v93, v[4:5], v[6:7] offset0:40 offset1:50
	;; [unrolled: 1-line block ×4, first 2 shown]
	s_waitcnt lgkmcnt(0)
	s_barrier
	s_and_saveexec_b64 s[2:3], s[0:1]
	s_cbranch_execz .LBB0_7
; %bb.6:
	v_add_u32_e32 v4, 0x400, v89
	ds_read2_b64 v[0:3], v89 offset1:100
	ds_read2_b64 v[12:15], v4 offset0:72 offset1:172
	ds_read2_b64 v[4:7], v52 offset0:144 offset1:244
	;; [unrolled: 1-line block ×4, first 2 shown]
	v_add_u32_e32 v40, 0x1c00, v89
	ds_read2_b64 v[40:43], v40 offset0:104 offset1:204
	ds_read_b64 v[48:49], v89 offset:9600
.LBB0_7:
	s_or_b64 exec, exec, s[2:3]
	s_and_saveexec_b64 s[2:3], s[0:1]
	s_cbranch_execz .LBB0_9
; %bb.8:
	s_waitcnt lgkmcnt(0)
	v_mul_f32_e32 v50, v39, v48
	v_mul_f32_e32 v51, v29, v2
	v_fma_f32 v50, v38, v49, -v50
	v_fma_f32 v51, v28, v3, -v51
	v_mul_f32_e32 v29, v29, v3
	v_add_f32_e32 v52, v50, v51
	v_fmac_f32_e32 v29, v28, v2
	v_mul_f32_e32 v28, v39, v49
	v_mul_f32_e32 v53, 0xbf788fa5, v52
	v_fmac_f32_e32 v28, v38, v48
	v_sub_f32_e32 v2, v29, v28
	v_mov_b32_e32 v3, v53
	v_fmac_f32_e32 v3, 0x3e750f2a, v2
	v_add_f32_e32 v38, v1, v3
	v_mul_f32_e32 v3, v37, v42
	v_fma_f32 v39, v36, v43, -v3
	v_mul_f32_e32 v3, v31, v12
	v_fma_f32 v48, v30, v13, -v3
	v_mul_f32_e32 v31, v31, v13
	v_add_f32_e32 v49, v39, v48
	v_fmac_f32_e32 v31, v30, v12
	v_mul_f32_e32 v30, v37, v43
	v_mul_f32_e32 v54, 0x3f62ad3f, v49
	v_fmac_f32_e32 v30, v36, v42
	v_mul_f32_e32 v13, v35, v40
	v_sub_f32_e32 v3, v31, v30
	v_mov_b32_e32 v12, v54
	v_fma_f32 v36, v34, v41, -v13
	v_mul_f32_e32 v13, v25, v14
	v_fmac_f32_e32 v12, 0xbeedf032, v3
	v_fma_f32 v37, v24, v15, -v13
	v_mul_f32_e32 v25, v25, v15
	v_add_f32_e32 v12, v12, v38
	v_add_f32_e32 v38, v36, v37
	v_fmac_f32_e32 v25, v24, v14
	v_mul_f32_e32 v24, v35, v41
	v_mul_f32_e32 v42, 0xbf3f9e67, v38
	v_fmac_f32_e32 v24, v34, v40
	v_sub_f32_e32 v34, v25, v24
	v_mov_b32_e32 v13, v42
	v_fmac_f32_e32 v13, 0x3f29c268, v34
	v_add_f32_e32 v12, v13, v12
	v_mul_f32_e32 v13, v33, v46
	v_fma_f32 v35, v32, v47, -v13
	v_mul_f32_e32 v13, v27, v4
	v_fma_f32 v40, v26, v5, -v13
	v_mul_f32_e32 v27, v27, v5
	v_mul_f32_e32 v5, v19, v44
	v_fmac_f32_e32 v27, v26, v4
	v_mul_f32_e32 v26, v33, v47
	v_fma_f32 v33, v18, v45, -v5
	v_mul_f32_e32 v5, v21, v6
	v_add_f32_e32 v14, v35, v40
	v_fma_f32 v43, v20, v7, -v5
	v_mul_f32_e32 v41, 0x3f116cb1, v14
	v_fmac_f32_e32 v26, v32, v46
	v_add_f32_e32 v15, v33, v43
	v_mul_f32_e32 v21, v21, v7
	v_mul_f32_e32 v19, v19, v45
	v_sub_f32_e32 v32, v27, v26
	v_mov_b32_e32 v4, v41
	v_mul_f32_e32 v46, 0xbeb58ec6, v15
	v_fmac_f32_e32 v21, v20, v6
	v_fmac_f32_e32 v19, v18, v44
	;; [unrolled: 1-line block ×3, first 2 shown]
	v_sub_f32_e32 v44, v21, v19
	v_mov_b32_e32 v5, v46
	v_add_f32_e32 v4, v4, v12
	v_fmac_f32_e32 v5, 0x3f6f5d39, v44
	v_add_f32_e32 v4, v5, v4
	v_mul_f32_e32 v5, v17, v10
	v_fma_f32 v18, v16, v11, -v5
	v_mul_f32_e32 v5, v23, v8
	v_fma_f32 v20, v22, v9, -v5
	v_mul_f32_e32 v23, v23, v9
	v_add_f32_e32 v45, v18, v20
	v_fmac_f32_e32 v23, v22, v8
	v_mul_f32_e32 v22, v17, v11
	v_mul_f32_e32 v47, 0x3df6dbef, v45
	v_fmac_f32_e32 v22, v16, v10
	v_sub_f32_e32 v55, v23, v22
	v_mov_b32_e32 v5, v47
	v_sub_f32_e32 v16, v51, v50
	v_fmac_f32_e32 v5, 0xbf7e222b, v55
	v_mul_f32_e32 v57, 0xbe750f2a, v16
	v_sub_f32_e32 v17, v48, v39
	v_add_f32_e32 v5, v5, v4
	v_add_f32_e32 v56, v28, v29
	v_mov_b32_e32 v4, v57
	v_mul_f32_e32 v59, 0x3eedf032, v17
	v_fmac_f32_e32 v4, 0xbf788fa5, v56
	v_add_f32_e32 v58, v30, v31
	v_mov_b32_e32 v6, v59
	v_sub_f32_e32 v61, v37, v36
	v_add_f32_e32 v4, v0, v4
	v_fmac_f32_e32 v6, 0x3f62ad3f, v58
	v_mul_f32_e32 v62, 0xbf29c268, v61
	v_add_f32_e32 v4, v6, v4
	v_add_f32_e32 v60, v24, v25
	v_mov_b32_e32 v6, v62
	v_sub_f32_e32 v85, v40, v35
	v_fmac_f32_e32 v6, 0xbf3f9e67, v60
	v_mul_f32_e32 v86, 0x3f52af12, v85
	v_add_f32_e32 v4, v6, v4
	v_add_f32_e32 v63, v26, v27
	v_mov_b32_e32 v6, v86
	v_sub_f32_e32 v88, v43, v33
	;; [unrolled: 6-line block ×3, first 2 shown]
	v_fmac_f32_e32 v6, 0xbeb58ec6, v87
	v_mul_f32_e32 v94, 0x3f7e222b, v93
	v_add_f32_e32 v4, v6, v4
	v_add_f32_e32 v92, v22, v23
	v_mov_b32_e32 v6, v94
	v_fmac_f32_e32 v6, 0x3df6dbef, v92
	v_mul_f32_e32 v95, 0xbf3f9e67, v52
	v_add_f32_e32 v4, v6, v4
	v_mov_b32_e32 v6, v95
	v_mul_f32_e32 v96, 0x3df6dbef, v49
	v_fmac_f32_e32 v6, 0x3f29c268, v2
	v_mov_b32_e32 v7, v96
	v_add_f32_e32 v6, v1, v6
	v_fmac_f32_e32 v7, 0xbf7e222b, v3
	v_mul_f32_e32 v97, 0x3f116cb1, v38
	v_add_f32_e32 v6, v7, v6
	v_mov_b32_e32 v7, v97
	v_fmac_f32_e32 v7, 0x3f52af12, v34
	v_mul_f32_e32 v98, 0xbf788fa5, v14
	v_add_f32_e32 v6, v7, v6
	v_mov_b32_e32 v7, v98
	v_fmac_f32_e32 v7, 0xbe750f2a, v32
	v_mul_f32_e32 v99, 0x3f62ad3f, v15
	v_add_f32_e32 v6, v7, v6
	v_mov_b32_e32 v7, v99
	v_fmac_f32_e32 v7, 0xbeedf032, v44
	v_mul_f32_e32 v100, 0xbeb58ec6, v45
	v_add_f32_e32 v6, v7, v6
	v_mov_b32_e32 v7, v100
	v_fmac_f32_e32 v7, 0x3f6f5d39, v55
	v_mul_f32_e32 v101, 0xbf29c268, v16
	v_add_f32_e32 v7, v7, v6
	v_mov_b32_e32 v6, v101
	v_mul_f32_e32 v102, 0x3f7e222b, v17
	v_fmac_f32_e32 v6, 0xbf3f9e67, v56
	v_mov_b32_e32 v8, v102
	v_add_f32_e32 v6, v0, v6
	v_fmac_f32_e32 v8, 0x3df6dbef, v58
	v_mul_f32_e32 v103, 0xbf52af12, v61
	v_add_f32_e32 v6, v8, v6
	v_mov_b32_e32 v8, v103
	v_fmac_f32_e32 v8, 0x3f116cb1, v60
	v_mul_f32_e32 v104, 0x3e750f2a, v85
	v_add_f32_e32 v6, v8, v6
	v_mov_b32_e32 v8, v104
	v_fmac_f32_e32 v8, 0xbf788fa5, v63
	v_mul_f32_e32 v105, 0x3eedf032, v88
	v_add_f32_e32 v6, v8, v6
	v_mov_b32_e32 v8, v105
	v_fmac_f32_e32 v8, 0x3f62ad3f, v87
	v_mul_f32_e32 v106, 0xbf6f5d39, v93
	;; [unrolled: 24-line block ×7, first 2 shown]
	v_add_f32_e32 v12, v13, v12
	v_mov_b32_e32 v13, v136
	v_fmac_f32_e32 v13, 0xbeedf032, v55
	v_mul_f32_e32 v137, 0xbf52af12, v16
	v_add_f32_e32 v13, v13, v12
	v_mov_b32_e32 v12, v137
	v_mul_f32_e32 v138, 0xbf6f5d39, v17
	v_fmac_f32_e32 v12, 0x3f116cb1, v56
	v_mov_b32_e32 v139, v138
	v_add_f32_e32 v12, v0, v12
	v_fmac_f32_e32 v139, 0xbeb58ec6, v58
	v_add_f32_e32 v12, v139, v12
	v_mul_f32_e32 v139, 0xbe750f2a, v61
	v_mov_b32_e32 v140, v139
	v_fmac_f32_e32 v140, 0xbf788fa5, v60
	v_add_f32_e32 v12, v140, v12
	v_mul_f32_e32 v140, 0x3f29c268, v85
	v_mov_b32_e32 v141, v140
	;; [unrolled: 4-line block ×4, first 2 shown]
	v_fmac_f32_e32 v143, 0x3f62ad3f, v92
	v_mul_f32_e32 v52, 0x3f62ad3f, v52
	v_add_f32_e32 v12, v143, v12
	v_mov_b32_e32 v143, v52
	v_mul_f32_e32 v49, 0x3f116cb1, v49
	v_fmac_f32_e32 v143, 0x3eedf032, v2
	v_mov_b32_e32 v144, v49
	v_add_f32_e32 v143, v1, v143
	v_fmac_f32_e32 v144, 0x3f52af12, v3
	v_mul_f32_e32 v38, 0x3df6dbef, v38
	v_add_f32_e32 v143, v144, v143
	v_mov_b32_e32 v144, v38
	v_fmac_f32_e32 v144, 0x3f7e222b, v34
	v_add_f32_e32 v143, v144, v143
	v_mul_f32_e32 v144, 0xbeb58ec6, v14
	v_mov_b32_e32 v14, v144
	v_fmac_f32_e32 v14, 0x3f6f5d39, v32
	v_add_f32_e32 v14, v14, v143
	v_mul_f32_e32 v143, 0xbf3f9e67, v15
	v_mov_b32_e32 v15, v143
	v_fmac_f32_e32 v15, 0x3f29c268, v44
	v_mul_f32_e32 v45, 0xbf788fa5, v45
	v_add_f32_e32 v14, v15, v14
	v_mov_b32_e32 v15, v45
	v_fmac_f32_e32 v15, 0x3e750f2a, v55
	v_mul_f32_e32 v145, 0xbeedf032, v16
	v_add_f32_e32 v15, v15, v14
	v_mov_b32_e32 v14, v145
	v_mul_f32_e32 v146, 0xbf52af12, v17
	v_fmac_f32_e32 v14, 0x3f62ad3f, v56
	v_mov_b32_e32 v16, v146
	v_add_f32_e32 v14, v0, v14
	v_fmac_f32_e32 v16, 0x3f116cb1, v58
	v_mul_f32_e32 v61, 0xbf7e222b, v61
	v_add_f32_e32 v14, v16, v14
	v_mov_b32_e32 v16, v61
	v_fmac_f32_e32 v16, 0x3df6dbef, v60
	v_mul_f32_e32 v85, 0xbf6f5d39, v85
	v_add_f32_e32 v14, v16, v14
	v_mov_b32_e32 v16, v85
	;; [unrolled: 4-line block ×4, first 2 shown]
	v_fmac_f32_e32 v16, 0xbf788fa5, v92
	v_add_f32_e32 v14, v16, v14
	v_add_f32_e32 v16, v51, v1
	;; [unrolled: 1-line block ×15, first 2 shown]
	v_fmac_f32_e32 v53, 0xbe750f2a, v2
	v_add_f32_e32 v16, v25, v16
	v_add_f32_e32 v18, v1, v53
	v_fmac_f32_e32 v54, 0x3eedf032, v3
	v_add_f32_e32 v16, v27, v16
	v_add_f32_e32 v18, v54, v18
	;; [unrolled: 3-line block ×4, first 2 shown]
	v_fmac_f32_e32 v46, 0xbf6f5d39, v44
	s_mov_b32 s0, 0xbf788fa5
	v_add_f32_e32 v16, v22, v16
	v_add_f32_e32 v18, v46, v18
	v_fmac_f32_e32 v47, 0x3f7e222b, v55
	s_mov_b32 s1, 0x3f62ad3f
	v_add_f32_e32 v16, v19, v16
	v_add_f32_e32 v19, v47, v18
	v_fma_f32 v18, v56, s0, -v57
	s_mov_b32 s6, 0xbf3f9e67
	v_add_f32_e32 v18, v0, v18
	v_fma_f32 v20, v58, s1, -v59
	v_add_f32_e32 v18, v20, v18
	v_fma_f32 v20, v60, s6, -v62
	s_mov_b32 s12, 0xbeb58ec6
	v_add_f32_e32 v18, v20, v18
	v_fma_f32 v20, v63, s7, -v86
	s_mov_b32 s13, 0x3df6dbef
	v_add_f32_e32 v18, v20, v18
	v_fma_f32 v20, v87, s12, -v91
	v_add_f32_e32 v18, v20, v18
	v_fma_f32 v20, v92, s13, -v94
	v_fmac_f32_e32 v95, 0xbf29c268, v2
	v_add_f32_e32 v18, v20, v18
	v_add_f32_e32 v20, v1, v95
	v_fmac_f32_e32 v96, 0x3f7e222b, v3
	v_add_f32_e32 v20, v96, v20
	v_fmac_f32_e32 v97, 0xbf52af12, v34
	;; [unrolled: 2-line block ×5, first 2 shown]
	v_add_f32_e32 v21, v100, v20
	v_fma_f32 v20, v56, s6, -v101
	v_add_f32_e32 v20, v0, v20
	v_fma_f32 v22, v58, s13, -v102
	;; [unrolled: 2-line block ×6, first 2 shown]
	v_fmac_f32_e32 v107, 0xbf6f5d39, v2
	v_add_f32_e32 v20, v22, v20
	v_add_f32_e32 v22, v1, v107
	v_fmac_f32_e32 v108, 0x3f29c268, v3
	v_add_f32_e32 v22, v108, v22
	v_fmac_f32_e32 v109, 0x3eedf032, v34
	;; [unrolled: 2-line block ×5, first 2 shown]
	v_add_f32_e32 v16, v26, v16
	v_add_f32_e32 v23, v112, v22
	v_fma_f32 v22, v56, s12, -v113
	v_add_f32_e32 v16, v24, v16
	v_add_f32_e32 v22, v0, v22
	v_fma_f32 v24, v58, s6, -v114
	v_add_f32_e32 v22, v24, v22
	v_fma_f32 v24, v60, s1, -v115
	;; [unrolled: 2-line block ×5, first 2 shown]
	v_fmac_f32_e32 v119, 0xbf7e222b, v2
	v_add_f32_e32 v22, v24, v22
	v_add_f32_e32 v24, v1, v119
	v_fmac_f32_e32 v120, 0xbe750f2a, v3
	v_add_f32_e32 v24, v120, v24
	v_fmac_f32_e32 v121, 0x3f6f5d39, v34
	;; [unrolled: 2-line block ×5, first 2 shown]
	v_add_f32_e32 v25, v124, v24
	v_fma_f32 v24, v56, s13, -v125
	v_add_f32_e32 v24, v0, v24
	v_fma_f32 v26, v58, s0, -v126
	;; [unrolled: 2-line block ×6, first 2 shown]
	v_fmac_f32_e32 v131, 0xbf52af12, v2
	v_add_f32_e32 v24, v26, v24
	v_add_f32_e32 v26, v1, v131
	v_fmac_f32_e32 v132, 0xbf6f5d39, v3
	v_add_f32_e32 v26, v132, v26
	v_fmac_f32_e32 v133, 0xbe750f2a, v34
	;; [unrolled: 2-line block ×5, first 2 shown]
	v_add_f32_e32 v27, v136, v26
	v_fma_f32 v26, v56, s7, -v137
	v_fmac_f32_e32 v52, 0xbeedf032, v2
	v_fma_f32 v2, v56, s1, -v145
	v_add_f32_e32 v26, v0, v26
	v_add_f32_e32 v0, v0, v2
	v_fma_f32 v2, v58, s7, -v146
	v_add_f32_e32 v0, v2, v0
	v_fma_f32 v2, v60, s13, -v61
	;; [unrolled: 2-line block ×3, first 2 shown]
	v_add_f32_e32 v16, v30, v16
	v_add_f32_e32 v0, v2, v0
	v_fma_f32 v2, v87, s6, -v88
	v_add_f32_e32 v16, v28, v16
	v_fma_f32 v28, v58, s12, -v138
	;; [unrolled: 2-line block ×4, first 2 shown]
	v_add_f32_e32 v1, v1, v52
	v_fmac_f32_e32 v49, 0xbf52af12, v3
	v_add_f32_e32 v0, v2, v0
	v_add_u32_e32 v2, 0x400, v89
	v_add_f32_e32 v26, v28, v26
	v_fma_f32 v28, v63, s6, -v140
	v_add_f32_e32 v1, v49, v1
	v_fmac_f32_e32 v38, 0xbf7e222b, v34
	ds_write2_b64 v2, v[12:13], v[10:11] offset0:72 offset1:172
	v_add_u32_e32 v2, 0x800, v89
	v_add_f32_e32 v26, v28, v26
	v_fma_f32 v28, v87, s13, -v141
	v_add_f32_e32 v1, v38, v1
	v_fmac_f32_e32 v144, 0xbf6f5d39, v32
	ds_write2_b64 v2, v[8:9], v[6:7] offset0:144 offset1:244
	;; [unrolled: 6-line block ×3, first 2 shown]
	v_add_u32_e32 v2, 0x1800, v89
	v_add_f32_e32 v26, v28, v26
	v_add_f32_e32 v1, v143, v1
	v_fmac_f32_e32 v45, 0xbe750f2a, v55
	ds_write2_b64 v2, v[20:21], v[22:23] offset0:32 offset1:132
	v_add_u32_e32 v2, 0x1c00, v89
	v_add_f32_e32 v1, v45, v1
	ds_write2_b64 v89, v[16:17], v[14:15] offset1:100
	ds_write2_b64 v2, v[24:25], v[26:27] offset0:104 offset1:204
	ds_write_b64 v89, v[0:1] offset:9600
.LBB0_9:
	s_or_b64 exec, exec, s[2:3]
	s_waitcnt lgkmcnt(0)
	s_barrier
	ds_read2_b64 v[0:3], v89 offset1:130
	v_mad_u64_u32 v[4:5], s[0:1], s10, v68, 0
	s_mov_b32 s0, 0x7f9b2ce6
	s_mov_b32 s1, 0x3f4934c6
	s_waitcnt lgkmcnt(0)
	v_mul_f32_e32 v6, v84, v1
	v_fmac_f32_e32 v6, v83, v0
	v_cvt_f64_f32_e32 v[6:7], v6
	v_mul_f32_e32 v0, v84, v0
	v_fma_f32 v0, v83, v1, -v0
	v_cvt_f64_f32_e32 v[0:1], v0
	v_mul_f64 v[6:7], v[6:7], s[0:1]
	v_mad_u64_u32 v[8:9], s[2:3], s8, v90, 0
	v_mul_f64 v[0:1], v[0:1], s[0:1]
	v_mad_u64_u32 v[10:11], s[2:3], s11, v68, v[5:6]
	v_mov_b32_e32 v5, v9
	v_mad_u64_u32 v[11:12], s[2:3], s9, v90, v[5:6]
	v_mov_b32_e32 v5, v10
	v_cvt_f32_f64_e32 v6, v[6:7]
	v_cvt_f32_f64_e32 v7, v[0:1]
	v_lshlrev_b64 v[0:1], 3, v[4:5]
	v_mul_f32_e32 v4, v82, v3
	v_fmac_f32_e32 v4, v81, v2
	v_mul_f32_e32 v2, v82, v2
	v_fma_f32 v2, v81, v3, -v2
	v_mov_b32_e32 v9, v11
	v_mov_b32_e32 v10, s5
	v_cvt_f64_f32_e32 v[2:3], v2
	v_add_co_u32_e32 v11, vcc, s4, v0
	v_addc_co_u32_e32 v12, vcc, v10, v1, vcc
	v_lshlrev_b64 v[0:1], 3, v[8:9]
	v_cvt_f64_f32_e32 v[4:5], v4
	v_add_co_u32_e32 v10, vcc, v11, v0
	v_add_u32_e32 v0, 0x800, v89
	v_mul_f64 v[8:9], v[2:3], s[0:1]
	v_addc_co_u32_e32 v11, vcc, v12, v1, vcc
	ds_read2_b64 v[0:3], v0 offset0:4 offset1:134
	v_mul_f64 v[4:5], v[4:5], s[0:1]
	global_store_dwordx2 v[10:11], v[6:7], off
	s_mul_i32 s2, s9, 0x410
	s_mul_hi_u32 s3, s8, 0x410
	s_waitcnt lgkmcnt(0)
	v_mul_f32_e32 v6, v80, v1
	v_fmac_f32_e32 v6, v79, v0
	v_mul_f32_e32 v0, v80, v0
	v_fma_f32 v0, v79, v1, -v0
	v_cvt_f64_f32_e32 v[6:7], v6
	v_cvt_f64_f32_e32 v[0:1], v0
	v_cvt_f32_f64_e32 v4, v[4:5]
	v_cvt_f32_f64_e32 v5, v[8:9]
	s_add_i32 s2, s3, s2
	s_mul_i32 s3, s8, 0x410
	v_mov_b32_e32 v9, s2
	v_mul_f64 v[6:7], v[6:7], s[0:1]
	v_add_co_u32_e32 v8, vcc, s3, v10
	v_mul_f64 v[0:1], v[0:1], s[0:1]
	v_addc_co_u32_e32 v9, vcc, v11, v9, vcc
	global_store_dwordx2 v[8:9], v[4:5], off
	v_mul_f32_e32 v5, v78, v3
	v_fmac_f32_e32 v5, v77, v2
	v_mul_f32_e32 v2, v78, v2
	v_fma_f32 v2, v77, v3, -v2
	v_cvt_f64_f32_e32 v[2:3], v2
	v_cvt_f32_f64_e32 v4, v[6:7]
	v_cvt_f64_f32_e32 v[6:7], v5
	v_cvt_f32_f64_e32 v5, v[0:1]
	v_add_u32_e32 v0, 0x1000, v89
	v_mul_f64 v[10:11], v[2:3], s[0:1]
	ds_read2_b64 v[0:3], v0 offset0:8 offset1:138
	v_mov_b32_e32 v12, s2
	v_add_co_u32_e32 v8, vcc, s3, v8
	v_addc_co_u32_e32 v9, vcc, v9, v12, vcc
	global_store_dwordx2 v[8:9], v[4:5], off
	s_waitcnt lgkmcnt(0)
	v_mul_f32_e32 v4, v76, v1
	v_fmac_f32_e32 v4, v75, v0
	v_cvt_f64_f32_e32 v[4:5], v4
	v_mul_f32_e32 v0, v76, v0
	v_fma_f32 v0, v75, v1, -v0
	v_mul_f64 v[6:7], v[6:7], s[0:1]
	v_mul_f64 v[4:5], v[4:5], s[0:1]
	v_cvt_f64_f32_e32 v[0:1], v0
	v_add_co_u32_e32 v8, vcc, s3, v8
	v_mul_f64 v[0:1], v[0:1], s[0:1]
	v_cvt_f32_f64_e32 v6, v[6:7]
	v_cvt_f32_f64_e32 v4, v[4:5]
	v_mul_f32_e32 v5, v72, v3
	v_fmac_f32_e32 v5, v71, v2
	v_mul_f32_e32 v2, v72, v2
	v_cvt_f32_f64_e32 v7, v[10:11]
	v_fma_f32 v2, v71, v3, -v2
	v_cvt_f64_f32_e32 v[2:3], v2
	v_mov_b32_e32 v10, s2
	v_addc_co_u32_e32 v9, vcc, v9, v10, vcc
	global_store_dwordx2 v[8:9], v[6:7], off
	v_cvt_f64_f32_e32 v[6:7], v5
	v_cvt_f32_f64_e32 v5, v[0:1]
	v_add_u32_e32 v0, 0x1800, v89
	v_mul_f64 v[10:11], v[2:3], s[0:1]
	ds_read2_b64 v[0:3], v0 offset0:12 offset1:142
	v_add_co_u32_e32 v8, vcc, s3, v8
	v_addc_co_u32_e32 v9, vcc, v9, v12, vcc
	global_store_dwordx2 v[8:9], v[4:5], off
	s_waitcnt lgkmcnt(0)
	v_mul_f32_e32 v4, v67, v1
	v_fmac_f32_e32 v4, v66, v0
	v_cvt_f64_f32_e32 v[4:5], v4
	v_mul_f64 v[6:7], v[6:7], s[0:1]
	v_mul_f32_e32 v0, v67, v0
	v_fma_f32 v0, v66, v1, -v0
	v_mul_f64 v[4:5], v[4:5], s[0:1]
	v_cvt_f64_f32_e32 v[0:1], v0
	v_add_co_u32_e32 v8, vcc, s3, v8
	v_cvt_f32_f64_e32 v6, v[6:7]
	v_cvt_f32_f64_e32 v7, v[10:11]
	v_mul_f64 v[0:1], v[0:1], s[0:1]
	v_mov_b32_e32 v10, s2
	v_cvt_f32_f64_e32 v4, v[4:5]
	v_mul_f32_e32 v5, v65, v3
	v_addc_co_u32_e32 v9, vcc, v9, v10, vcc
	v_fmac_f32_e32 v5, v64, v2
	global_store_dwordx2 v[8:9], v[6:7], off
	v_cvt_f64_f32_e32 v[6:7], v5
	v_mul_f32_e32 v2, v65, v2
	v_fma_f32 v2, v64, v3, -v2
	v_cvt_f64_f32_e32 v[2:3], v2
	v_mul_f64 v[6:7], v[6:7], s[0:1]
	v_cvt_f32_f64_e32 v5, v[0:1]
	v_mov_b32_e32 v0, s2
	v_add_co_u32_e32 v8, vcc, s3, v8
	v_addc_co_u32_e32 v9, vcc, v9, v0, vcc
	v_add_u32_e32 v0, 0x2000, v89
	v_mul_f64 v[10:11], v[2:3], s[0:1]
	ds_read2_b64 v[0:3], v0 offset0:16 offset1:146
	global_store_dwordx2 v[8:9], v[4:5], off
	v_cvt_f32_f64_e32 v4, v[6:7]
	v_add_co_u32_e32 v8, vcc, s3, v8
	s_waitcnt lgkmcnt(0)
	v_mul_f32_e32 v6, v74, v1
	v_fmac_f32_e32 v6, v73, v0
	v_mul_f32_e32 v0, v74, v0
	v_fma_f32 v0, v73, v1, -v0
	v_cvt_f32_f64_e32 v5, v[10:11]
	v_cvt_f64_f32_e32 v[6:7], v6
	v_cvt_f64_f32_e32 v[0:1], v0
	v_mov_b32_e32 v10, s2
	v_addc_co_u32_e32 v9, vcc, v9, v10, vcc
	global_store_dwordx2 v[8:9], v[4:5], off
	v_mul_f64 v[4:5], v[6:7], s[0:1]
	v_mul_f64 v[0:1], v[0:1], s[0:1]
	v_mul_f32_e32 v6, v70, v3
	v_fmac_f32_e32 v6, v69, v2
	v_mul_f32_e32 v2, v70, v2
	v_fma_f32 v2, v69, v3, -v2
	v_cvt_f64_f32_e32 v[6:7], v6
	v_cvt_f64_f32_e32 v[2:3], v2
	v_cvt_f32_f64_e32 v4, v[4:5]
	v_cvt_f32_f64_e32 v5, v[0:1]
	v_mul_f64 v[0:1], v[6:7], s[0:1]
	v_mul_f64 v[2:3], v[2:3], s[0:1]
	v_mov_b32_e32 v7, s2
	v_add_co_u32_e32 v6, vcc, s3, v8
	v_addc_co_u32_e32 v7, vcc, v9, v7, vcc
	global_store_dwordx2 v[6:7], v[4:5], off
	v_cvt_f32_f64_e32 v0, v[0:1]
	v_cvt_f32_f64_e32 v1, v[2:3]
	v_mov_b32_e32 v3, s2
	v_add_co_u32_e32 v2, vcc, s3, v6
	v_addc_co_u32_e32 v3, vcc, v7, v3, vcc
	global_store_dwordx2 v[2:3], v[0:1], off
.LBB0_10:
	s_endpgm
	.section	.rodata,"a",@progbits
	.p2align	6, 0x0
	.amdhsa_kernel bluestein_single_fwd_len1300_dim1_sp_op_CI_CI
		.amdhsa_group_segment_fixed_size 10400
		.amdhsa_private_segment_fixed_size 0
		.amdhsa_kernarg_size 104
		.amdhsa_user_sgpr_count 6
		.amdhsa_user_sgpr_private_segment_buffer 1
		.amdhsa_user_sgpr_dispatch_ptr 0
		.amdhsa_user_sgpr_queue_ptr 0
		.amdhsa_user_sgpr_kernarg_segment_ptr 1
		.amdhsa_user_sgpr_dispatch_id 0
		.amdhsa_user_sgpr_flat_scratch_init 0
		.amdhsa_user_sgpr_private_segment_size 0
		.amdhsa_uses_dynamic_stack 0
		.amdhsa_system_sgpr_private_segment_wavefront_offset 0
		.amdhsa_system_sgpr_workgroup_id_x 1
		.amdhsa_system_sgpr_workgroup_id_y 0
		.amdhsa_system_sgpr_workgroup_id_z 0
		.amdhsa_system_sgpr_workgroup_info 0
		.amdhsa_system_vgpr_workitem_id 0
		.amdhsa_next_free_vgpr 230
		.amdhsa_next_free_sgpr 20
		.amdhsa_reserve_vcc 1
		.amdhsa_reserve_flat_scratch 0
		.amdhsa_float_round_mode_32 0
		.amdhsa_float_round_mode_16_64 0
		.amdhsa_float_denorm_mode_32 3
		.amdhsa_float_denorm_mode_16_64 3
		.amdhsa_dx10_clamp 1
		.amdhsa_ieee_mode 1
		.amdhsa_fp16_overflow 0
		.amdhsa_exception_fp_ieee_invalid_op 0
		.amdhsa_exception_fp_denorm_src 0
		.amdhsa_exception_fp_ieee_div_zero 0
		.amdhsa_exception_fp_ieee_overflow 0
		.amdhsa_exception_fp_ieee_underflow 0
		.amdhsa_exception_fp_ieee_inexact 0
		.amdhsa_exception_int_div_zero 0
	.end_amdhsa_kernel
	.text
.Lfunc_end0:
	.size	bluestein_single_fwd_len1300_dim1_sp_op_CI_CI, .Lfunc_end0-bluestein_single_fwd_len1300_dim1_sp_op_CI_CI
                                        ; -- End function
	.section	.AMDGPU.csdata,"",@progbits
; Kernel info:
; codeLenInByte = 13592
; NumSgprs: 24
; NumVgprs: 230
; ScratchSize: 0
; MemoryBound: 0
; FloatMode: 240
; IeeeMode: 1
; LDSByteSize: 10400 bytes/workgroup (compile time only)
; SGPRBlocks: 2
; VGPRBlocks: 57
; NumSGPRsForWavesPerEU: 24
; NumVGPRsForWavesPerEU: 230
; Occupancy: 1
; WaveLimiterHint : 1
; COMPUTE_PGM_RSRC2:SCRATCH_EN: 0
; COMPUTE_PGM_RSRC2:USER_SGPR: 6
; COMPUTE_PGM_RSRC2:TRAP_HANDLER: 0
; COMPUTE_PGM_RSRC2:TGID_X_EN: 1
; COMPUTE_PGM_RSRC2:TGID_Y_EN: 0
; COMPUTE_PGM_RSRC2:TGID_Z_EN: 0
; COMPUTE_PGM_RSRC2:TIDIG_COMP_CNT: 0
	.type	__hip_cuid_719808d250faa49b,@object ; @__hip_cuid_719808d250faa49b
	.section	.bss,"aw",@nobits
	.globl	__hip_cuid_719808d250faa49b
__hip_cuid_719808d250faa49b:
	.byte	0                               ; 0x0
	.size	__hip_cuid_719808d250faa49b, 1

	.ident	"AMD clang version 19.0.0git (https://github.com/RadeonOpenCompute/llvm-project roc-6.4.0 25133 c7fe45cf4b819c5991fe208aaa96edf142730f1d)"
	.section	".note.GNU-stack","",@progbits
	.addrsig
	.addrsig_sym __hip_cuid_719808d250faa49b
	.amdgpu_metadata
---
amdhsa.kernels:
  - .args:
      - .actual_access:  read_only
        .address_space:  global
        .offset:         0
        .size:           8
        .value_kind:     global_buffer
      - .actual_access:  read_only
        .address_space:  global
        .offset:         8
        .size:           8
        .value_kind:     global_buffer
      - .actual_access:  read_only
        .address_space:  global
        .offset:         16
        .size:           8
        .value_kind:     global_buffer
      - .actual_access:  read_only
        .address_space:  global
        .offset:         24
        .size:           8
        .value_kind:     global_buffer
      - .actual_access:  read_only
        .address_space:  global
        .offset:         32
        .size:           8
        .value_kind:     global_buffer
      - .offset:         40
        .size:           8
        .value_kind:     by_value
      - .address_space:  global
        .offset:         48
        .size:           8
        .value_kind:     global_buffer
      - .address_space:  global
        .offset:         56
        .size:           8
        .value_kind:     global_buffer
      - .address_space:  global
        .offset:         64
        .size:           8
        .value_kind:     global_buffer
      - .address_space:  global
        .offset:         72
        .size:           8
        .value_kind:     global_buffer
      - .offset:         80
        .size:           4
        .value_kind:     by_value
      - .address_space:  global
        .offset:         88
        .size:           8
        .value_kind:     global_buffer
      - .address_space:  global
        .offset:         96
        .size:           8
        .value_kind:     global_buffer
    .group_segment_fixed_size: 10400
    .kernarg_segment_align: 8
    .kernarg_segment_size: 104
    .language:       OpenCL C
    .language_version:
      - 2
      - 0
    .max_flat_workgroup_size: 130
    .name:           bluestein_single_fwd_len1300_dim1_sp_op_CI_CI
    .private_segment_fixed_size: 0
    .sgpr_count:     24
    .sgpr_spill_count: 0
    .symbol:         bluestein_single_fwd_len1300_dim1_sp_op_CI_CI.kd
    .uniform_work_group_size: 1
    .uses_dynamic_stack: false
    .vgpr_count:     230
    .vgpr_spill_count: 0
    .wavefront_size: 64
amdhsa.target:   amdgcn-amd-amdhsa--gfx906
amdhsa.version:
  - 1
  - 2
...

	.end_amdgpu_metadata
